;; amdgpu-corpus repo=ROCm/rocFFT kind=compiled arch=gfx1030 opt=O3
	.text
	.amdgcn_target "amdgcn-amd-amdhsa--gfx1030"
	.amdhsa_code_object_version 6
	.protected	fft_rtc_fwd_len1890_factors_2_3_3_3_7_5_wgs_126_tpt_126_halfLds_dp_ip_CI_unitstride_sbrr_dirReg ; -- Begin function fft_rtc_fwd_len1890_factors_2_3_3_3_7_5_wgs_126_tpt_126_halfLds_dp_ip_CI_unitstride_sbrr_dirReg
	.globl	fft_rtc_fwd_len1890_factors_2_3_3_3_7_5_wgs_126_tpt_126_halfLds_dp_ip_CI_unitstride_sbrr_dirReg
	.p2align	8
	.type	fft_rtc_fwd_len1890_factors_2_3_3_3_7_5_wgs_126_tpt_126_halfLds_dp_ip_CI_unitstride_sbrr_dirReg,@function
fft_rtc_fwd_len1890_factors_2_3_3_3_7_5_wgs_126_tpt_126_halfLds_dp_ip_CI_unitstride_sbrr_dirReg: ; @fft_rtc_fwd_len1890_factors_2_3_3_3_7_5_wgs_126_tpt_126_halfLds_dp_ip_CI_unitstride_sbrr_dirReg
; %bb.0:
	s_clause 0x2
	s_load_dwordx4 s[8:11], s[4:5], 0x0
	s_load_dwordx2 s[2:3], s[4:5], 0x50
	s_load_dwordx2 s[12:13], s[4:5], 0x18
	v_mul_u32_u24_e32 v1, 0x209, v0
	v_mov_b32_e32 v3, 0
	v_add_nc_u32_sdwa v5, s6, v1 dst_sel:DWORD dst_unused:UNUSED_PAD src0_sel:DWORD src1_sel:WORD_1
	v_mov_b32_e32 v1, 0
	v_mov_b32_e32 v6, v3
	v_mov_b32_e32 v2, 0
	s_waitcnt lgkmcnt(0)
	v_cmp_lt_u64_e64 s0, s[10:11], 2
	s_and_b32 vcc_lo, exec_lo, s0
	s_cbranch_vccnz .LBB0_8
; %bb.1:
	s_load_dwordx2 s[0:1], s[4:5], 0x10
	v_mov_b32_e32 v1, 0
	s_add_u32 s6, s12, 8
	v_mov_b32_e32 v2, 0
	s_addc_u32 s7, s13, 0
	s_mov_b64 s[16:17], 1
	s_waitcnt lgkmcnt(0)
	s_add_u32 s14, s0, 8
	s_addc_u32 s15, s1, 0
.LBB0_2:                                ; =>This Inner Loop Header: Depth=1
	s_load_dwordx2 s[18:19], s[14:15], 0x0
                                        ; implicit-def: $vgpr7_vgpr8
	s_mov_b32 s0, exec_lo
	s_waitcnt lgkmcnt(0)
	v_or_b32_e32 v4, s19, v6
	v_cmpx_ne_u64_e32 0, v[3:4]
	s_xor_b32 s1, exec_lo, s0
	s_cbranch_execz .LBB0_4
; %bb.3:                                ;   in Loop: Header=BB0_2 Depth=1
	v_cvt_f32_u32_e32 v4, s18
	v_cvt_f32_u32_e32 v7, s19
	s_sub_u32 s0, 0, s18
	s_subb_u32 s20, 0, s19
	v_fmac_f32_e32 v4, 0x4f800000, v7
	v_rcp_f32_e32 v4, v4
	v_mul_f32_e32 v4, 0x5f7ffffc, v4
	v_mul_f32_e32 v7, 0x2f800000, v4
	v_trunc_f32_e32 v7, v7
	v_fmac_f32_e32 v4, 0xcf800000, v7
	v_cvt_u32_f32_e32 v7, v7
	v_cvt_u32_f32_e32 v4, v4
	v_mul_lo_u32 v8, s0, v7
	v_mul_hi_u32 v9, s0, v4
	v_mul_lo_u32 v10, s20, v4
	v_add_nc_u32_e32 v8, v9, v8
	v_mul_lo_u32 v9, s0, v4
	v_add_nc_u32_e32 v8, v8, v10
	v_mul_hi_u32 v10, v4, v9
	v_mul_lo_u32 v11, v4, v8
	v_mul_hi_u32 v12, v4, v8
	v_mul_hi_u32 v13, v7, v9
	v_mul_lo_u32 v9, v7, v9
	v_mul_hi_u32 v14, v7, v8
	v_mul_lo_u32 v8, v7, v8
	v_add_co_u32 v10, vcc_lo, v10, v11
	v_add_co_ci_u32_e32 v11, vcc_lo, 0, v12, vcc_lo
	v_add_co_u32 v9, vcc_lo, v10, v9
	v_add_co_ci_u32_e32 v9, vcc_lo, v11, v13, vcc_lo
	v_add_co_ci_u32_e32 v10, vcc_lo, 0, v14, vcc_lo
	v_add_co_u32 v8, vcc_lo, v9, v8
	v_add_co_ci_u32_e32 v9, vcc_lo, 0, v10, vcc_lo
	v_add_co_u32 v4, vcc_lo, v4, v8
	v_add_co_ci_u32_e32 v7, vcc_lo, v7, v9, vcc_lo
	v_mul_hi_u32 v8, s0, v4
	v_mul_lo_u32 v10, s20, v4
	v_mul_lo_u32 v9, s0, v7
	v_add_nc_u32_e32 v8, v8, v9
	v_mul_lo_u32 v9, s0, v4
	v_add_nc_u32_e32 v8, v8, v10
	v_mul_hi_u32 v10, v4, v9
	v_mul_lo_u32 v11, v4, v8
	v_mul_hi_u32 v12, v4, v8
	v_mul_hi_u32 v13, v7, v9
	v_mul_lo_u32 v9, v7, v9
	v_mul_hi_u32 v14, v7, v8
	v_mul_lo_u32 v8, v7, v8
	v_add_co_u32 v10, vcc_lo, v10, v11
	v_add_co_ci_u32_e32 v11, vcc_lo, 0, v12, vcc_lo
	v_add_co_u32 v9, vcc_lo, v10, v9
	v_add_co_ci_u32_e32 v9, vcc_lo, v11, v13, vcc_lo
	v_add_co_ci_u32_e32 v10, vcc_lo, 0, v14, vcc_lo
	v_add_co_u32 v8, vcc_lo, v9, v8
	v_add_co_ci_u32_e32 v9, vcc_lo, 0, v10, vcc_lo
	v_add_co_u32 v4, vcc_lo, v4, v8
	v_add_co_ci_u32_e32 v11, vcc_lo, v7, v9, vcc_lo
	v_mul_hi_u32 v13, v5, v4
	v_mad_u64_u32 v[9:10], null, v6, v4, 0
	v_mad_u64_u32 v[7:8], null, v5, v11, 0
	;; [unrolled: 1-line block ×3, first 2 shown]
	v_add_co_u32 v4, vcc_lo, v13, v7
	v_add_co_ci_u32_e32 v7, vcc_lo, 0, v8, vcc_lo
	v_add_co_u32 v4, vcc_lo, v4, v9
	v_add_co_ci_u32_e32 v4, vcc_lo, v7, v10, vcc_lo
	v_add_co_ci_u32_e32 v7, vcc_lo, 0, v12, vcc_lo
	v_add_co_u32 v4, vcc_lo, v4, v11
	v_add_co_ci_u32_e32 v9, vcc_lo, 0, v7, vcc_lo
	v_mul_lo_u32 v10, s19, v4
	v_mad_u64_u32 v[7:8], null, s18, v4, 0
	v_mul_lo_u32 v11, s18, v9
	v_sub_co_u32 v7, vcc_lo, v5, v7
	v_add3_u32 v8, v8, v11, v10
	v_sub_nc_u32_e32 v10, v6, v8
	v_subrev_co_ci_u32_e64 v10, s0, s19, v10, vcc_lo
	v_add_co_u32 v11, s0, v4, 2
	v_add_co_ci_u32_e64 v12, s0, 0, v9, s0
	v_sub_co_u32 v13, s0, v7, s18
	v_sub_co_ci_u32_e32 v8, vcc_lo, v6, v8, vcc_lo
	v_subrev_co_ci_u32_e64 v10, s0, 0, v10, s0
	v_cmp_le_u32_e32 vcc_lo, s18, v13
	v_cmp_eq_u32_e64 s0, s19, v8
	v_cndmask_b32_e64 v13, 0, -1, vcc_lo
	v_cmp_le_u32_e32 vcc_lo, s19, v10
	v_cndmask_b32_e64 v14, 0, -1, vcc_lo
	v_cmp_le_u32_e32 vcc_lo, s18, v7
	;; [unrolled: 2-line block ×3, first 2 shown]
	v_cndmask_b32_e64 v15, 0, -1, vcc_lo
	v_cmp_eq_u32_e32 vcc_lo, s19, v10
	v_cndmask_b32_e64 v7, v15, v7, s0
	v_cndmask_b32_e32 v10, v14, v13, vcc_lo
	v_add_co_u32 v13, vcc_lo, v4, 1
	v_add_co_ci_u32_e32 v14, vcc_lo, 0, v9, vcc_lo
	v_cmp_ne_u32_e32 vcc_lo, 0, v10
	v_cndmask_b32_e32 v8, v14, v12, vcc_lo
	v_cndmask_b32_e32 v10, v13, v11, vcc_lo
	v_cmp_ne_u32_e32 vcc_lo, 0, v7
	v_cndmask_b32_e32 v8, v9, v8, vcc_lo
	v_cndmask_b32_e32 v7, v4, v10, vcc_lo
.LBB0_4:                                ;   in Loop: Header=BB0_2 Depth=1
	s_andn2_saveexec_b32 s0, s1
	s_cbranch_execz .LBB0_6
; %bb.5:                                ;   in Loop: Header=BB0_2 Depth=1
	v_cvt_f32_u32_e32 v4, s18
	s_sub_i32 s1, 0, s18
	v_rcp_iflag_f32_e32 v4, v4
	v_mul_f32_e32 v4, 0x4f7ffffe, v4
	v_cvt_u32_f32_e32 v4, v4
	v_mul_lo_u32 v7, s1, v4
	v_mul_hi_u32 v7, v4, v7
	v_add_nc_u32_e32 v4, v4, v7
	v_mul_hi_u32 v4, v5, v4
	v_mul_lo_u32 v7, v4, s18
	v_add_nc_u32_e32 v8, 1, v4
	v_sub_nc_u32_e32 v7, v5, v7
	v_subrev_nc_u32_e32 v9, s18, v7
	v_cmp_le_u32_e32 vcc_lo, s18, v7
	v_cndmask_b32_e32 v7, v7, v9, vcc_lo
	v_cndmask_b32_e32 v4, v4, v8, vcc_lo
	v_cmp_le_u32_e32 vcc_lo, s18, v7
	v_add_nc_u32_e32 v8, 1, v4
	v_cndmask_b32_e32 v7, v4, v8, vcc_lo
	v_mov_b32_e32 v8, v3
.LBB0_6:                                ;   in Loop: Header=BB0_2 Depth=1
	s_or_b32 exec_lo, exec_lo, s0
	s_load_dwordx2 s[0:1], s[6:7], 0x0
	v_mul_lo_u32 v4, v8, s18
	v_mul_lo_u32 v11, v7, s19
	v_mad_u64_u32 v[9:10], null, v7, s18, 0
	s_add_u32 s16, s16, 1
	s_addc_u32 s17, s17, 0
	s_add_u32 s6, s6, 8
	s_addc_u32 s7, s7, 0
	;; [unrolled: 2-line block ×3, first 2 shown]
	v_add3_u32 v4, v10, v11, v4
	v_sub_co_u32 v5, vcc_lo, v5, v9
	v_sub_co_ci_u32_e32 v4, vcc_lo, v6, v4, vcc_lo
	s_waitcnt lgkmcnt(0)
	v_mul_lo_u32 v6, s1, v5
	v_mul_lo_u32 v4, s0, v4
	v_mad_u64_u32 v[1:2], null, s0, v5, v[1:2]
	v_cmp_ge_u64_e64 s0, s[16:17], s[10:11]
	s_and_b32 vcc_lo, exec_lo, s0
	v_add3_u32 v2, v6, v2, v4
	s_cbranch_vccnz .LBB0_9
; %bb.7:                                ;   in Loop: Header=BB0_2 Depth=1
	v_mov_b32_e32 v5, v7
	v_mov_b32_e32 v6, v8
	s_branch .LBB0_2
.LBB0_8:
	v_mov_b32_e32 v8, v6
	v_mov_b32_e32 v7, v5
.LBB0_9:
	s_lshl_b64 s[0:1], s[10:11], 3
	v_mul_hi_u32 v5, 0x2082083, v0
	s_add_u32 s0, s12, s0
	s_addc_u32 s1, s13, s1
                                        ; implicit-def: $vgpr52_vgpr53
                                        ; implicit-def: $vgpr36_vgpr37
                                        ; implicit-def: $vgpr60_vgpr61
                                        ; implicit-def: $vgpr48_vgpr49
                                        ; implicit-def: $vgpr28_vgpr29
                                        ; implicit-def: $vgpr40_vgpr41
                                        ; implicit-def: $vgpr56_vgpr57
                                        ; implicit-def: $vgpr44_vgpr45
                                        ; implicit-def: $vgpr12_vgpr13
                                        ; implicit-def: $vgpr24_vgpr25
                                        ; implicit-def: $vgpr20_vgpr21
                                        ; implicit-def: $vgpr32_vgpr33
                                        ; implicit-def: $vgpr64_vgpr65
                                        ; implicit-def: $vgpr16_vgpr17
	s_load_dwordx2 s[0:1], s[0:1], 0x0
	s_load_dwordx2 s[4:5], s[4:5], 0x20
	s_waitcnt lgkmcnt(0)
	v_mul_lo_u32 v3, s0, v8
	v_mul_lo_u32 v4, s1, v7
	v_mad_u64_u32 v[1:2], null, s0, v7, v[1:2]
	v_cmp_gt_u64_e32 vcc_lo, s[4:5], v[7:8]
                                        ; implicit-def: $vgpr8_vgpr9
	v_add3_u32 v2, v4, v2, v3
	v_mul_u32_u24_e32 v3, 0x7e, v5
                                        ; implicit-def: $vgpr4_vgpr5
	v_lshlrev_b64 v[68:69], 4, v[1:2]
	v_sub_nc_u32_e32 v66, v0, v3
	s_and_saveexec_b32 s1, vcc_lo
	s_cbranch_execz .LBB0_13
; %bb.10:
	v_mov_b32_e32 v67, 0
	v_add_co_u32 v2, s0, s2, v68
	v_add_co_ci_u32_e64 v3, s0, s3, v69, s0
	v_lshlrev_b64 v[0:1], 4, v[66:67]
	s_mov_b32 s4, exec_lo
	v_add_co_u32 v0, s0, v2, v0
	v_add_co_ci_u32_e64 v1, s0, v3, v1, s0
	v_add_co_u32 v6, s0, 0x3800, v0
	v_add_co_ci_u32_e64 v7, s0, 0, v1, s0
	v_add_co_u32 v8, s0, 0x4000, v0
	v_add_co_ci_u32_e64 v9, s0, 0, v1, s0
	v_add_co_u32 v10, s0, 0x800, v0
	v_add_co_ci_u32_e64 v11, s0, 0, v1, s0
	v_add_co_u32 v12, s0, 0x4800, v0
	v_add_co_ci_u32_e64 v13, s0, 0, v1, s0
	v_add_co_u32 v22, s0, 0x1000, v0
	v_add_co_ci_u32_e64 v23, s0, 0, v1, s0
	v_add_co_u32 v26, s0, 0x5000, v0
	v_add_co_ci_u32_e64 v27, s0, 0, v1, s0
	v_add_co_u32 v28, s0, 0x1800, v0
	v_add_co_ci_u32_e64 v29, s0, 0, v1, s0
	v_add_co_u32 v34, s0, 0x5800, v0
	v_add_co_ci_u32_e64 v35, s0, 0, v1, s0
	s_clause 0x7
	global_load_dwordx4 v[14:17], v[0:1], off
	global_load_dwordx4 v[2:5], v[0:1], off offset:2016
	global_load_dwordx4 v[62:65], v[6:7], off offset:784
	;; [unrolled: 1-line block ×7, first 2 shown]
	v_add_co_u32 v26, s0, 0x2000, v0
	v_add_co_ci_u32_e64 v27, s0, 0, v1, s0
	v_add_co_u32 v36, s0, 0x6000, v0
	v_add_co_ci_u32_e64 v37, s0, 0, v1, s0
	;; [unrolled: 2-line block ×4, first 2 shown]
	s_clause 0x5
	global_load_dwordx4 v[42:45], v[28:29], off offset:1920
	global_load_dwordx4 v[54:57], v[34:35], off offset:656
	;; [unrolled: 1-line block ×6, first 2 shown]
                                        ; implicit-def: $vgpr34_vgpr35
                                        ; implicit-def: $vgpr50_vgpr51
	v_cmpx_gt_u32_e32 63, v66
; %bb.11:
	v_add_co_u32 v34, s0, 0x3000, v0
	v_add_co_ci_u32_e64 v35, s0, 0, v1, s0
	v_add_co_u32 v0, s0, 0x7000, v0
	v_add_co_ci_u32_e64 v1, s0, 0, v1, s0
	s_clause 0x1
	global_load_dwordx4 v[34:37], v[34:35], off offset:1824
	global_load_dwordx4 v[50:53], v[0:1], off offset:560
; %bb.12:
	s_or_b32 exec_lo, exec_lo, s4
.LBB0_13:
	s_or_b32 exec_lo, exec_lo, s1
	s_waitcnt vmcnt(11)
	v_add_f64 v[78:79], v[14:15], -v[62:63]
	s_waitcnt vmcnt(10)
	v_add_f64 v[82:83], v[2:3], -v[6:7]
	;; [unrolled: 2-line block ×7, first 2 shown]
	v_add_nc_u32_e32 v101, 0x7e, v66
	v_add_nc_u32_e32 v100, 0xfc, v66
	v_add_nc_u32_e32 v75, 0x17a, v66
	v_add_nc_u32_e32 v71, 0x1f8, v66
	v_add_nc_u32_e32 v0, 0x372, v66
	v_cmp_gt_u32_e64 s0, 63, v66
	v_fma_f64 v[76:77], v[14:15], 2.0, -v[78:79]
	v_fma_f64 v[80:81], v[2:3], 2.0, -v[82:83]
	v_add_f64 v[2:3], v[34:35], -v[50:51]
	v_fma_f64 v[84:85], v[30:31], 2.0, -v[86:87]
	v_fma_f64 v[88:89], v[22:23], 2.0, -v[90:91]
	;; [unrolled: 1-line block ×5, first 2 shown]
	v_lshl_add_u32 v47, v66, 4, 0
	v_lshl_add_u32 v51, v101, 4, 0
	;; [unrolled: 1-line block ×6, first 2 shown]
	v_add_nc_u32_e32 v42, 0x2760, v47
	v_add_nc_u32_e32 v39, 0x2f40, v47
	ds_write_b128 v47, v[76:79]
	ds_write_b128 v51, v[80:83]
	;; [unrolled: 1-line block ×5, first 2 shown]
	ds_write_b128 v47, v[96:99] offset:10080
	ds_write_b128 v47, v[102:105] offset:12096
	s_and_saveexec_b32 s1, s0
	s_cbranch_execz .LBB0_15
; %bb.14:
	v_fma_f64 v[0:1], v[34:35], 2.0, -v[2:3]
	ds_write_b128 v38, v[0:3]
.LBB0_15:
	s_or_b32 exec_lo, exec_lo, s1
	v_add_f64 v[58:59], v[16:17], -v[64:65]
	v_add_f64 v[62:63], v[4:5], -v[8:9]
	;; [unrolled: 1-line block ×7, first 2 shown]
	v_lshl_add_u32 v67, v66, 3, 0
	s_waitcnt lgkmcnt(0)
	s_barrier
	buffer_gl0_inv
	v_add_f64 v[6:7], v[36:37], -v[52:53]
	v_add_nc_u32_e32 v64, 0xc00, v67
	v_add_nc_u32_e32 v74, 0x2400, v67
	;; [unrolled: 1-line block ×6, first 2 shown]
	ds_read_b64 v[0:1], v67 offset:14112
	ds_read2_b64 v[12:15], v67 offset1:126
	ds_read2_b64 v[8:11], v64 offset0:120 offset1:246
	ds_read2_b64 v[28:31], v74 offset0:108 offset1:234
	;; [unrolled: 1-line block ×3, first 2 shown]
	v_fma_f64 v[56:57], v[16:17], 2.0, -v[58:59]
	v_fma_f64 v[60:61], v[4:5], 2.0, -v[62:63]
	ds_read2_b64 v[16:19], v70 offset0:124 offset1:250
	v_fma_f64 v[76:77], v[32:33], 2.0, -v[78:79]
	v_fma_f64 v[80:81], v[24:25], 2.0, -v[82:83]
	ds_read2_b64 v[32:35], v72 offset0:104 offset1:230
	ds_read2_b64 v[24:27], v65 offset0:112 offset1:238
	v_fma_f64 v[84:85], v[44:45], 2.0, -v[86:87]
	v_fma_f64 v[88:89], v[40:41], 2.0, -v[90:91]
	;; [unrolled: 1-line block ×3, first 2 shown]
	s_waitcnt lgkmcnt(0)
	s_barrier
	buffer_gl0_inv
	ds_write_b128 v47, v[56:59]
	ds_write_b128 v51, v[60:63]
	;; [unrolled: 1-line block ×7, first 2 shown]
	s_and_saveexec_b32 s1, s0
	s_cbranch_execz .LBB0_17
; %bb.16:
	v_fma_f64 v[4:5], v[36:37], 2.0, -v[6:7]
	ds_write_b128 v38, v[4:7]
.LBB0_17:
	s_or_b32 exec_lo, exec_lo, s1
	v_and_b32_e32 v76, 1, v66
	s_waitcnt lgkmcnt(0)
	s_barrier
	buffer_gl0_inv
	v_lshrrev_b32_e32 v5, 1, v66
	v_lshlrev_b32_e32 v4, 5, v76
	v_lshrrev_b32_e32 v77, 1, v101
	v_lshrrev_b32_e32 v102, 1, v100
	;; [unrolled: 1-line block ×4, first 2 shown]
	s_clause 0x1
	global_load_dwordx4 v[40:43], v4, s[8:9] offset:16
	global_load_dwordx4 v[44:47], v4, s[8:9]
	ds_read2_b64 v[48:51], v74 offset0:108 offset1:234
	ds_read2_b64 v[52:55], v73 offset0:116 offset1:242
	ds_read2_b64 v[36:39], v64 offset0:120 offset1:246
	ds_read2_b64 v[56:59], v72 offset0:104 offset1:230
	ds_read2_b64 v[60:63], v65 offset0:112 offset1:238
	ds_read_b64 v[87:88], v67 offset:14112
	ds_read2_b64 v[79:82], v67 offset1:126
	ds_read2_b64 v[83:86], v70 offset0:124 offset1:250
	v_and_b32_e32 v99, 0xff, v101
	v_mul_u32_u24_e32 v90, 6, v5
	v_mul_u32_u24_e32 v77, 6, v77
	;; [unrolled: 1-line block ×5, first 2 shown]
	v_mul_lo_u16 v92, 0xab, v99
	v_or_b32_e32 v117, v90, v76
	v_or_b32_e32 v118, v77, v76
	;; [unrolled: 1-line block ×5, first 2 shown]
	v_lshrrev_b16 v76, 10, v92
	v_lshl_add_u32 v134, v117, 3, 0
	v_lshl_add_u32 v135, v118, 3, 0
	v_and_b32_e32 v98, 0xff, v66
	s_mov_b32 s4, 0xe8584caa
	s_mov_b32 s5, 0x3febb67a
	;; [unrolled: 1-line block ×4, first 2 shown]
	v_mul_lo_u16 v5, 0xab, v98
	v_mov_b32_e32 v4, 5
	v_mov_b32_e32 v97, 0xaaab
	v_lshl_add_u32 v130, v130, 3, 0
	s_waitcnt vmcnt(0) lgkmcnt(0)
	v_lshrrev_b16 v5, 10, v5
	s_barrier
	buffer_gl0_inv
	v_mul_u32_u24_sdwa v129, v100, v97 dst_sel:DWORD dst_unused:UNUSED_PAD src0_sel:WORD_0 src1_sel:DWORD
	v_cmp_gt_u32_e64 s0, 18, v66
	v_mul_lo_u16 v133, v5, 6
	v_mul_f64 v[77:78], v[48:49], v[42:43]
	v_mul_f64 v[89:90], v[50:51], v[42:43]
	;; [unrolled: 1-line block ×20, first 2 shown]
	v_fma_f64 v[28:29], v[28:29], v[40:41], -v[77:78]
	v_fma_f64 v[30:31], v[30:31], v[40:41], -v[89:90]
	v_fma_f64 v[48:49], v[48:49], v[40:41], v[91:92]
	v_fma_f64 v[20:21], v[20:21], v[44:45], -v[95:96]
	v_fma_f64 v[22:23], v[22:23], v[44:45], -v[103:104]
	;; [unrolled: 1-line block ×3, first 2 shown]
	v_fma_f64 v[38:39], v[38:39], v[44:45], v[109:110]
	v_fma_f64 v[32:33], v[32:33], v[40:41], -v[111:112]
	v_fma_f64 v[34:35], v[34:35], v[40:41], -v[113:114]
	v_fma_f64 v[24:25], v[24:25], v[44:45], -v[115:116]
	v_fma_f64 v[26:27], v[26:27], v[44:45], -v[121:122]
	v_fma_f64 v[0:1], v[0:1], v[40:41], -v[125:126]
	v_fma_f64 v[50:51], v[50:51], v[40:41], v[93:94]
	v_fma_f64 v[52:53], v[52:53], v[44:45], v[107:108]
	;; [unrolled: 1-line block ×8, first 2 shown]
	v_sub_nc_u16 v77, v66, v133
	v_lshl_add_u32 v127, v131, 3, 0
	v_lshl_add_u32 v128, v132, 3, 0
	v_mul_lo_u16 v78, v76, 6
	v_add_f64 v[46:47], v[20:21], v[30:31]
	v_add_f64 v[103:104], v[14:15], v[20:21]
	;; [unrolled: 1-line block ×20, first 2 shown]
	v_add_f64 v[10:11], v[10:11], -v[28:29]
	v_add_f64 v[38:39], v[38:39], -v[48:49]
	;; [unrolled: 1-line block ×4, first 2 shown]
	v_fma_f64 v[12:13], v[42:43], -0.5, v[12:13]
	v_add_f64 v[42:43], v[60:61], -v[58:59]
	v_fma_f64 v[14:15], v[46:47], -0.5, v[14:15]
	v_add_f64 v[44:45], v[44:45], -v[40:41]
	v_fma_f64 v[16:17], v[89:90], -0.5, v[16:17]
	v_fma_f64 v[18:19], v[91:92], -0.5, v[18:19]
	;; [unrolled: 1-line block ×4, first 2 shown]
	v_add_f64 v[20:21], v[20:21], -v[30:31]
	v_fma_f64 v[60:61], v[87:88], -0.5, v[81:82]
	v_add_f64 v[22:23], v[22:23], -v[32:33]
	v_fma_f64 v[62:63], v[109:110], -0.5, v[83:84]
	;; [unrolled: 2-line block ×4, first 2 shown]
	v_add_f64 v[28:29], v[93:94], v[28:29]
	v_add_f64 v[48:49], v[95:96], v[48:49]
	v_add_f64 v[30:31], v[103:104], v[30:31]
	v_add_f64 v[50:51], v[105:106], v[50:51]
	v_add_f64 v[32:33], v[107:108], v[32:33]
	v_add_f64 v[56:57], v[117:118], v[56:57]
	v_fma_f64 v[81:82], v[38:39], s[4:5], v[12:13]
	v_fma_f64 v[12:13], v[38:39], s[6:7], v[12:13]
	;; [unrolled: 1-line block ×10, first 2 shown]
	v_add_f64 v[44:45], v[119:120], v[58:59]
	v_fma_f64 v[58:59], v[10:11], s[6:7], v[46:47]
	v_fma_f64 v[46:47], v[10:11], s[4:5], v[46:47]
	;; [unrolled: 1-line block ×6, first 2 shown]
	v_add_f64 v[34:35], v[113:114], v[34:35]
	v_fma_f64 v[87:88], v[24:25], s[6:7], v[79:80]
	v_fma_f64 v[79:80], v[24:25], s[4:5], v[79:80]
	v_add_f64 v[0:1], v[123:124], v[0:1]
	v_add_f64 v[40:41], v[125:126], v[40:41]
	v_fma_f64 v[89:90], v[26:27], s[6:7], v[36:37]
	v_fma_f64 v[36:37], v[26:27], s[4:5], v[36:37]
	v_lshlrev_b32_sdwa v131, v4, v77 dst_sel:DWORD dst_unused:UNUSED_PAD src0_sel:DWORD src1_sel:BYTE_0
	ds_write2_b64 v134, v[28:29], v[81:82] offset1:2
	ds_write_b64 v134, v[12:13] offset:32
	ds_write2_b64 v135, v[30:31], v[38:39] offset1:2
	ds_write_b64 v135, v[14:15] offset:32
	;; [unrolled: 2-line block ×5, first 2 shown]
	s_waitcnt lgkmcnt(0)
	s_barrier
	buffer_gl0_inv
	ds_read2_b64 v[12:15], v67 offset1:126
	ds_read2_b64 v[8:11], v64 offset0:120 offset1:246
	ds_read2_b64 v[32:35], v74 offset0:108 offset1:234
	;; [unrolled: 1-line block ×6, first 2 shown]
	ds_read_b64 v[0:1], v67 offset:14112
	s_waitcnt lgkmcnt(0)
	s_barrier
	buffer_gl0_inv
	ds_write2_b64 v134, v[48:49], v[58:59] offset1:2
	ds_write_b64 v134, v[46:47] offset:32
	ds_write2_b64 v135, v[50:51], v[83:84] offset1:2
	ds_write_b64 v135, v[60:61] offset:32
	;; [unrolled: 2-line block ×5, first 2 shown]
	s_waitcnt lgkmcnt(0)
	s_barrier
	buffer_gl0_inv
	s_clause 0x1
	global_load_dwordx4 v[40:43], v131, s[8:9] offset:80
	global_load_dwordx4 v[85:88], v131, s[8:9] offset:64
	v_lshrrev_b32_e32 v80, 18, v129
	v_sub_nc_u16 v78, v101, v78
	v_mul_u32_u24_sdwa v45, v75, v97 dst_sel:DWORD dst_unused:UNUSED_PAD src0_sel:WORD_0 src1_sel:DWORD
	v_mov_b32_e32 v104, 0xe38f
	v_mul_lo_u16 v105, v98, 57
	v_mul_lo_u16 v44, v80, 6
	v_lshlrev_b32_sdwa v132, v4, v78 dst_sel:DWORD dst_unused:UNUSED_PAD src0_sel:DWORD src1_sel:BYTE_0
	v_mul_lo_u16 v106, v99, 57
	v_mul_u32_u24_sdwa v108, v100, v104 dst_sel:DWORD dst_unused:UNUSED_PAD src0_sel:WORD_0 src1_sel:DWORD
	v_mul_u32_u24_sdwa v109, v75, v104 dst_sel:DWORD dst_unused:UNUSED_PAD src0_sel:WORD_0 src1_sel:DWORD
	v_sub_nc_u16 v79, v100, v44
	v_mul_u32_u24_sdwa v44, v71, v97 dst_sel:DWORD dst_unused:UNUSED_PAD src0_sel:WORD_0 src1_sel:DWORD
	s_clause 0x1
	global_load_dwordx4 v[36:39], v132, s[8:9] offset:80
	global_load_dwordx4 v[81:84], v132, s[8:9] offset:64
	v_lshrrev_b32_e32 v97, 18, v45
	v_lshlrev_b32_sdwa v48, v4, v79 dst_sel:DWORD dst_unused:UNUSED_PAD src0_sel:DWORD src1_sel:WORD_0
	v_lshrrev_b32_e32 v112, 18, v44
	v_mul_u32_u24_sdwa v110, v71, v104 dst_sel:DWORD dst_unused:UNUSED_PAD src0_sel:WORD_0 src1_sel:DWORD
	v_lshrrev_b16 v134, 10, v105
	v_mul_lo_u16 v49, v97, 6
	s_clause 0x1
	global_load_dwordx4 v[44:47], v48, s[8:9] offset:64
	global_load_dwordx4 v[56:59], v48, s[8:9] offset:80
	v_mul_lo_u16 v50, v112, 6
	v_lshrrev_b16 v135, 10, v106
	v_sub_nc_u16 v126, v75, v49
	v_lshrrev_b32_e32 v136, 20, v108
	v_lshrrev_b32_e32 v137, 20, v109
	v_sub_nc_u16 v127, v71, v50
	v_lshrrev_b32_e32 v138, 20, v110
	v_lshlrev_b32_sdwa v52, v4, v126 dst_sel:DWORD dst_unused:UNUSED_PAD src0_sel:DWORD src1_sel:WORD_0
	v_mov_b32_e32 v113, 0x90
	v_mul_u32_u24_e32 v130, 0x90, v112
	v_lshlrev_b32_sdwa v89, v4, v127 dst_sel:DWORD dst_unused:UNUSED_PAD src0_sel:DWORD src1_sel:WORD_0
	s_clause 0x3
	global_load_dwordx4 v[48:51], v52, s[8:9] offset:80
	global_load_dwordx4 v[52:55], v52, s[8:9] offset:64
	;; [unrolled: 1-line block ×4, first 2 shown]
	ds_read2_b64 v[93:96], v74 offset0:108 offset1:234
	ds_read2_b64 v[104:107], v73 offset0:116 offset1:242
	;; [unrolled: 1-line block ×3, first 2 shown]
	v_mul_u32_u24_sdwa v5, v5, v113 dst_sel:DWORD dst_unused:UNUSED_PAD src0_sel:WORD_0 src1_sel:DWORD
	v_mul_u32_u24_sdwa v128, v76, v113 dst_sel:DWORD dst_unused:UNUSED_PAD src0_sel:WORD_0 src1_sel:DWORD
	ds_read2_b64 v[112:115], v72 offset0:104 offset1:230
	ds_read2_b64 v[116:119], v65 offset0:112 offset1:238
	v_mov_b32_e32 v103, 3
	v_mul_lo_u16 v76, v134, 18
	v_mul_u32_u24_e32 v129, 0x90, v80
	v_mul_lo_u16 v80, v135, 18
	v_mul_lo_u16 v132, v137, 18
	v_mul_u32_u24_e32 v97, 0x90, v97
	v_sub_nc_u16 v139, v66, v76
	v_lshlrev_b32_sdwa v76, v103, v77 dst_sel:DWORD dst_unused:UNUSED_PAD src0_sel:DWORD src1_sel:BYTE_0
	v_sub_nc_u16 v140, v101, v80
	v_sub_nc_u16 v142, v75, v132
	v_mul_lo_u16 v131, v136, 18
	v_mul_lo_u16 v133, v138, 18
	v_add3_u32 v5, 0, v5, v76
	v_sub_nc_u16 v141, v100, v131
	v_sub_nc_u16 v143, v71, v133
	s_waitcnt vmcnt(9) lgkmcnt(4)
	v_mul_f64 v[120:121], v[93:94], v[42:43]
	v_mul_f64 v[42:43], v[32:33], v[42:43]
	s_waitcnt vmcnt(7)
	v_mul_f64 v[122:123], v[95:96], v[38:39]
	v_mul_f64 v[38:39], v[34:35], v[38:39]
	s_waitcnt vmcnt(6) lgkmcnt(3)
	v_mul_f64 v[124:125], v[104:105], v[83:84]
	v_mul_f64 v[83:84], v[28:29], v[83:84]
	v_fma_f64 v[32:33], v[32:33], v[40:41], -v[120:121]
	v_fma_f64 v[40:41], v[93:94], v[40:41], v[42:43]
	ds_read_b64 v[93:94], v67 offset:14112
	s_waitcnt lgkmcnt(3)
	v_mul_f64 v[120:121], v[110:111], v[87:88]
	v_mul_f64 v[87:88], v[10:11], v[87:88]
	s_waitcnt vmcnt(5)
	v_mul_f64 v[42:43], v[106:107], v[46:47]
	v_mul_f64 v[46:47], v[30:31], v[46:47]
	s_waitcnt vmcnt(3) lgkmcnt(2)
	v_mul_f64 v[75:76], v[114:115], v[50:51]
	v_mul_f64 v[50:51], v[26:27], v[50:51]
	v_fma_f64 v[34:35], v[34:35], v[36:37], -v[122:123]
	v_lshlrev_b32_sdwa v122, v103, v78 dst_sel:DWORD dst_unused:UNUSED_PAD src0_sel:DWORD src1_sel:BYTE_0
	v_fma_f64 v[36:37], v[95:96], v[36:37], v[38:39]
	v_mul_f64 v[38:39], v[112:113], v[58:59]
	v_mul_f64 v[58:59], v[24:25], v[58:59]
	v_fma_f64 v[77:78], v[28:29], v[81:82], -v[124:125]
	v_fma_f64 v[80:81], v[104:105], v[81:82], v[83:84]
	s_waitcnt vmcnt(2) lgkmcnt(1)
	v_mul_f64 v[82:83], v[116:117], v[54:55]
	s_waitcnt vmcnt(1)
	v_mul_f64 v[95:96], v[118:119], v[62:63]
	s_waitcnt vmcnt(0) lgkmcnt(0)
	v_mul_f64 v[104:105], v[93:94], v[91:92]
	v_mul_f64 v[54:55], v[20:21], v[54:55]
	v_fma_f64 v[10:11], v[10:11], v[85:86], -v[120:121]
	v_fma_f64 v[84:85], v[110:111], v[85:86], v[87:88]
	v_mul_f64 v[62:63], v[22:23], v[62:63]
	v_mul_f64 v[86:87], v[0:1], v[91:92]
	v_fma_f64 v[42:43], v[30:31], v[44:45], -v[42:43]
	v_fma_f64 v[44:45], v[106:107], v[44:45], v[46:47]
	v_lshlrev_b32_sdwa v28, v103, v79 dst_sel:DWORD dst_unused:UNUSED_PAD src0_sel:DWORD src1_sel:WORD_0
	v_lshlrev_b32_sdwa v29, v103, v126 dst_sel:DWORD dst_unused:UNUSED_PAD src0_sel:DWORD src1_sel:WORD_0
	v_add3_u32 v124, 0, v128, v122
	v_fma_f64 v[26:27], v[26:27], v[48:49], -v[75:76]
	v_fma_f64 v[48:49], v[114:115], v[48:49], v[50:51]
	v_add3_u32 v126, 0, v129, v28
	v_add3_u32 v128, 0, v97, v29
	ds_read2_b64 v[28:31], v67 offset1:126
	v_fma_f64 v[24:25], v[24:25], v[56:57], -v[38:39]
	v_fma_f64 v[46:47], v[112:113], v[56:57], v[58:59]
	v_lshlrev_b32_sdwa v79, v103, v127 dst_sel:DWORD dst_unused:UNUSED_PAD src0_sel:DWORD src1_sel:WORD_0
	v_lshlrev_b32_sdwa v125, v4, v139 dst_sel:DWORD dst_unused:UNUSED_PAD src0_sel:DWORD src1_sel:BYTE_0
	v_fma_f64 v[38:39], v[20:21], v[52:53], -v[82:83]
	v_fma_f64 v[56:57], v[22:23], v[60:61], -v[95:96]
	;; [unrolled: 1-line block ×3, first 2 shown]
	v_fma_f64 v[50:51], v[116:117], v[52:53], v[54:55]
	v_add_f64 v[58:59], v[10:11], v[32:33]
	v_add_f64 v[75:76], v[84:85], v[40:41]
	v_fma_f64 v[52:53], v[118:119], v[60:61], v[62:63]
	v_fma_f64 v[54:55], v[93:94], v[89:90], v[86:87]
	ds_read2_b64 v[20:23], v70 offset0:124 offset1:250
	v_add_f64 v[60:61], v[77:78], v[34:35]
	v_add_f64 v[86:87], v[80:81], v[36:37]
	;; [unrolled: 1-line block ×4, first 2 shown]
	v_add_f64 v[10:11], v[10:11], -v[32:33]
	v_add3_u32 v130, 0, v130, v79
	s_waitcnt lgkmcnt(1)
	v_add_f64 v[88:89], v[28:29], v[84:85]
	v_add_f64 v[84:85], v[84:85], -v[40:41]
	v_add_f64 v[82:83], v[14:15], v[77:78]
	v_add_f64 v[92:93], v[42:43], v[24:25]
	;; [unrolled: 1-line block ×4, first 2 shown]
	v_add_f64 v[77:78], v[77:78], -v[34:35]
	v_add_f64 v[94:95], v[38:39], v[26:27]
	v_add_f64 v[104:105], v[18:19], v[38:39]
	;; [unrolled: 1-line block ×5, first 2 shown]
	v_fma_f64 v[12:13], v[58:59], -0.5, v[12:13]
	s_waitcnt lgkmcnt(0)
	v_add_f64 v[114:115], v[20:21], v[44:45]
	v_add_f64 v[118:119], v[52:53], v[54:55]
	;; [unrolled: 1-line block ×4, first 2 shown]
	v_add_f64 v[44:45], v[44:45], -v[46:47]
	v_add_f64 v[50:51], v[50:51], -v[48:49]
	;; [unrolled: 1-line block ×3, first 2 shown]
	v_fma_f64 v[28:29], v[75:76], -0.5, v[28:29]
	v_add_f64 v[79:80], v[80:81], -v[36:37]
	v_fma_f64 v[14:15], v[60:61], -0.5, v[14:15]
	v_fma_f64 v[30:31], v[86:87], -0.5, v[30:31]
	v_add_f64 v[42:43], v[42:43], -v[24:25]
	v_fma_f64 v[16:17], v[92:93], -0.5, v[16:17]
	v_fma_f64 v[20:21], v[110:111], -0.5, v[20:21]
	v_add_f64 v[38:39], v[38:39], -v[26:27]
	v_add_f64 v[56:57], v[56:57], -v[0:1]
	v_fma_f64 v[18:19], v[94:95], -0.5, v[18:19]
	v_add_f64 v[32:33], v[62:63], v[32:33]
	v_fma_f64 v[8:9], v[106:107], -0.5, v[8:9]
	v_fma_f64 v[22:23], v[112:113], -0.5, v[22:23]
	v_add_f64 v[60:61], v[88:89], v[40:41]
	v_fma_f64 v[40:41], v[84:85], s[4:5], v[12:13]
	v_fma_f64 v[12:13], v[84:85], s[6:7], v[12:13]
	v_fma_f64 v[58:59], v[118:119], -0.5, v[108:109]
	v_add_f64 v[34:35], v[82:83], v[34:35]
	v_add_f64 v[36:37], v[90:91], v[36:37]
	;; [unrolled: 1-line block ×7, first 2 shown]
	v_fma_f64 v[62:63], v[79:80], s[4:5], v[14:15]
	v_fma_f64 v[14:15], v[79:80], s[6:7], v[14:15]
	;; [unrolled: 1-line block ×11, first 2 shown]
	v_add_f64 v[52:53], v[122:123], v[54:55]
	v_fma_f64 v[54:55], v[10:11], s[6:7], v[28:29]
	v_fma_f64 v[10:11], v[10:11], s[4:5], v[28:29]
	;; [unrolled: 1-line block ×7, first 2 shown]
	v_lshlrev_b32_sdwa v127, v4, v140 dst_sel:DWORD dst_unused:UNUSED_PAD src0_sel:DWORD src1_sel:BYTE_0
	v_lshlrev_b32_sdwa v129, v4, v141 dst_sel:DWORD dst_unused:UNUSED_PAD src0_sel:DWORD src1_sel:WORD_0
	s_barrier
	buffer_gl0_inv
	ds_write2_b64 v5, v[32:33], v[40:41] offset1:6
	ds_write_b64 v5, v[12:13] offset:96
	ds_write2_b64 v124, v[34:35], v[62:63] offset1:6
	ds_write_b64 v124, v[14:15] offset:96
	;; [unrolled: 2-line block ×5, first 2 shown]
	s_waitcnt lgkmcnt(0)
	s_barrier
	buffer_gl0_inv
	ds_read2_b64 v[12:15], v67 offset1:126
	ds_read2_b64 v[16:19], v64 offset0:120 offset1:246
	ds_read2_b64 v[20:23], v74 offset0:108 offset1:234
	;; [unrolled: 1-line block ×6, first 2 shown]
	ds_read_b64 v[0:1], v67 offset:14112
	s_waitcnt lgkmcnt(0)
	s_barrier
	buffer_gl0_inv
	ds_write2_b64 v5, v[60:61], v[54:55] offset1:6
	ds_write_b64 v5, v[10:11] offset:96
	ds_write2_b64 v124, v[36:37], v[79:80] offset1:6
	ds_write_b64 v124, v[77:78] offset:96
	;; [unrolled: 2-line block ×5, first 2 shown]
	s_waitcnt lgkmcnt(0)
	s_barrier
	buffer_gl0_inv
	s_clause 0x4
	global_load_dwordx4 v[44:47], v125, s[8:9] offset:272
	global_load_dwordx4 v[48:51], v127, s[8:9] offset:272
	;; [unrolled: 1-line block ×5, first 2 shown]
	v_lshlrev_b32_sdwa v5, v4, v142 dst_sel:DWORD dst_unused:UNUSED_PAD src0_sel:DWORD src1_sel:WORD_0
	v_lshlrev_b32_sdwa v4, v4, v143 dst_sel:DWORD dst_unused:UNUSED_PAD src0_sel:DWORD src1_sel:WORD_0
	s_clause 0x4
	global_load_dwordx4 v[94:97], v129, s[8:9] offset:272
	global_load_dwordx4 v[104:107], v5, s[8:9] offset:272
	global_load_dwordx4 v[108:111], v5, s[8:9] offset:256
	global_load_dwordx4 v[112:115], v4, s[8:9] offset:256
	global_load_dwordx4 v[116:119], v4, s[8:9] offset:272
	ds_read2_b64 v[90:93], v74 offset0:108 offset1:234
	ds_read2_b64 v[120:123], v73 offset0:116 offset1:242
	;; [unrolled: 1-line block ×5, first 2 shown]
	ds_read_b64 v[4:5], v67 offset:14112
	s_waitcnt vmcnt(7) lgkmcnt(4)
	v_mul_f64 v[52:53], v[120:121], v[77:78]
	v_mul_f64 v[36:37], v[90:91], v[46:47]
	s_waitcnt vmcnt(5) lgkmcnt(3)
	v_mul_f64 v[58:59], v[10:11], v[88:89]
	v_mul_f64 v[38:39], v[92:93], v[50:51]
	;; [unrolled: 1-line block ×3, first 2 shown]
	s_waitcnt vmcnt(4) lgkmcnt(2)
	v_mul_f64 v[60:61], v[71:72], v[96:97]
	s_waitcnt vmcnt(3)
	v_mul_f64 v[62:63], v[73:74], v[106:107]
	s_waitcnt vmcnt(2) lgkmcnt(1)
	v_mul_f64 v[79:80], v[124:125], v[110:111]
	s_waitcnt vmcnt(1)
	v_mul_f64 v[128:129], v[126:127], v[114:115]
	s_waitcnt vmcnt(0) lgkmcnt(0)
	v_mul_f64 v[130:131], v[4:5], v[118:119]
	v_mul_f64 v[46:47], v[20:21], v[46:47]
	;; [unrolled: 1-line block ×5, first 2 shown]
	v_lshlrev_b32_sdwa v77, v103, v140 dst_sel:DWORD dst_unused:UNUSED_PAD src0_sel:DWORD src1_sel:BYTE_0
	v_fma_f64 v[52:53], v[24:25], v[75:76], -v[52:53]
	v_fma_f64 v[54:55], v[20:21], v[44:45], -v[36:37]
	v_mul_f64 v[20:21], v[18:19], v[88:89]
	v_fma_f64 v[64:65], v[18:19], v[86:87], -v[58:59]
	v_fma_f64 v[36:37], v[22:23], v[48:49], -v[38:39]
	v_mul_f64 v[22:23], v[32:33], v[96:97]
	v_fma_f64 v[38:39], v[26:27], v[82:83], -v[56:57]
	v_mul_f64 v[18:19], v[40:41], v[110:111]
	;; [unrolled: 2-line block ×3, first 2 shown]
	v_fma_f64 v[56:57], v[34:35], v[104:105], -v[62:63]
	v_fma_f64 v[62:63], v[40:41], v[108:109], -v[79:80]
	v_mul_f64 v[26:27], v[42:43], v[114:115]
	v_mul_f64 v[32:33], v[0:1], v[118:119]
	v_fma_f64 v[60:61], v[42:43], v[112:113], -v[128:129]
	v_fma_f64 v[80:81], v[0:1], v[116:117], -v[130:131]
	v_fma_f64 v[78:79], v[90:91], v[44:45], v[46:47]
	v_fma_f64 v[90:91], v[120:121], v[75:76], v[132:133]
	v_mov_b32_e32 v44, 0x1b0
	v_lshlrev_b32_sdwa v76, v103, v139 dst_sel:DWORD dst_unused:UNUSED_PAD src0_sel:DWORD src1_sel:BYTE_0
	v_lshlrev_b32_sdwa v110, v103, v141 dst_sel:DWORD dst_unused:UNUSED_PAD src0_sel:DWORD src1_sel:WORD_0
	v_mul_u32_u24_e32 v75, 0x1b0, v138
	v_add_nc_u32_e32 v106, 0x1800, v67
	v_add_nc_u32_e32 v107, 0x2000, v67
	v_fma_f64 v[88:89], v[10:11], v[86:87], v[20:21]
	v_add_f64 v[0:1], v[64:65], v[54:55]
	v_fma_f64 v[10:11], v[92:93], v[48:49], v[50:51]
	v_add_f64 v[20:21], v[52:53], v[36:37]
	v_fma_f64 v[92:93], v[122:123], v[82:83], v[84:85]
	v_fma_f64 v[82:83], v[71:72], v[94:95], v[22:23]
	v_fma_f64 v[94:95], v[124:125], v[108:109], v[18:19]
	v_add_f64 v[18:19], v[38:39], v[58:59]
	v_fma_f64 v[84:85], v[73:74], v[104:105], v[24:25]
	v_add_f64 v[22:23], v[62:63], v[56:57]
	v_fma_f64 v[96:97], v[126:127], v[112:113], v[26:27]
	v_fma_f64 v[86:87], v[4:5], v[116:117], v[32:33]
	v_add_f64 v[24:25], v[12:13], v[64:65]
	v_add_f64 v[4:5], v[60:61], v[80:81]
	;; [unrolled: 1-line block ×6, first 2 shown]
	v_mul_u32_u24_sdwa v71, v134, v44 dst_sel:DWORD dst_unused:UNUSED_PAD src0_sel:WORD_0 src1_sel:DWORD
	v_mul_u32_u24_sdwa v72, v135, v44 dst_sel:DWORD dst_unused:UNUSED_PAD src0_sel:WORD_0 src1_sel:DWORD
	v_mul_u32_u24_e32 v73, 0x1b0, v136
	v_mul_u32_u24_e32 v74, 0x1b0, v137
	v_add_f64 v[26:27], v[88:89], -v[78:79]
	v_fma_f64 v[0:1], v[0:1], -0.5, v[12:13]
	v_add_f64 v[12:13], v[90:91], -v[10:11]
	v_fma_f64 v[14:15], v[20:21], -0.5, v[14:15]
	v_add3_u32 v112, 0, v71, v76
	v_add_f64 v[20:21], v[92:93], -v[82:83]
	v_add_nc_u32_e32 v104, 0x800, v67
	v_fma_f64 v[18:19], v[18:19], -0.5, v[28:29]
	v_add_f64 v[28:29], v[94:95], -v[84:85]
	v_fma_f64 v[22:23], v[22:23], -0.5, v[30:31]
	v_add_nc_u32_e32 v105, 0x1000, v67
	v_add_f64 v[30:31], v[96:97], -v[86:87]
	v_add3_u32 v111, 0, v72, v77
	v_fma_f64 v[4:5], v[4:5], -0.5, v[16:17]
	v_add_f64 v[16:17], v[24:25], v[54:55]
	v_add_f64 v[24:25], v[32:33], v[36:37]
	v_add_f64 v[44:45], v[34:35], v[58:59]
	v_add_f64 v[40:41], v[40:41], v[56:57]
	v_add_f64 v[42:43], v[42:43], v[80:81]
	v_add3_u32 v110, 0, v73, v110
	v_add_nc_u32_e32 v108, 0x2800, v67
	v_add_nc_u32_e32 v109, 0x3000, v67
                                        ; implicit-def: $vgpr72_vgpr73
                                        ; implicit-def: $vgpr76_vgpr77
	v_fma_f64 v[46:47], v[26:27], s[4:5], v[0:1]
	v_fma_f64 v[26:27], v[26:27], s[6:7], v[0:1]
	;; [unrolled: 1-line block ×10, first 2 shown]
	v_lshlrev_b32_sdwa v4, v103, v142 dst_sel:DWORD dst_unused:UNUSED_PAD src0_sel:DWORD src1_sel:WORD_0
	v_lshlrev_b32_sdwa v5, v103, v143 dst_sel:DWORD dst_unused:UNUSED_PAD src0_sel:DWORD src1_sel:WORD_0
	ds_read2_b64 v[32:35], v67 offset1:126
	ds_read2_b64 v[28:31], v70 offset0:124 offset1:250
	s_waitcnt lgkmcnt(0)
	s_barrier
	v_add3_u32 v103, 0, v74, v4
	v_add3_u32 v113, 0, v75, v5
	buffer_gl0_inv
	ds_write2_b64 v112, v[16:17], v[46:47] offset1:18
	ds_write_b64 v112, v[26:27] offset:288
	ds_write2_b64 v111, v[24:25], v[48:49] offset1:18
	ds_write_b64 v111, v[12:13] offset:288
	;; [unrolled: 2-line block ×5, first 2 shown]
	s_waitcnt lgkmcnt(0)
	s_barrier
	buffer_gl0_inv
	ds_read2_b64 v[12:15], v67 offset1:126
	ds_read2_b64 v[48:51], v104 offset0:14 offset1:140
	ds_read2_b64 v[44:47], v105 offset0:28 offset1:154
	;; [unrolled: 1-line block ×6, first 2 shown]
                                        ; implicit-def: $vgpr4_vgpr5
                                        ; implicit-def: $vgpr70_vgpr71
                                        ; implicit-def: $vgpr74_vgpr75
	s_and_saveexec_b32 s1, s0
	s_cbranch_execz .LBB0_19
; %bb.18:
	ds_read_b64 v[0:1], v67 offset:2016
	ds_read_b64 v[2:3], v67 offset:4176
	;; [unrolled: 1-line block ×7, first 2 shown]
.LBB0_19:
	s_or_b32 exec_lo, exec_lo, s1
	v_add_f64 v[114:115], v[88:89], v[78:79]
	v_add_f64 v[116:117], v[90:91], v[10:11]
	;; [unrolled: 1-line block ×6, first 2 shown]
	v_add_f64 v[54:55], v[64:65], -v[54:55]
	v_add_f64 v[64:65], v[34:35], v[90:91]
	v_add_f64 v[36:37], v[52:53], -v[36:37]
	v_add_f64 v[90:91], v[28:29], v[92:93]
	;; [unrolled: 2-line block ×4, first 2 shown]
	v_add_f64 v[56:57], v[60:61], -v[80:81]
	s_waitcnt lgkmcnt(0)
	s_barrier
	buffer_gl0_inv
	v_fma_f64 v[32:33], v[114:115], -0.5, v[32:33]
	v_fma_f64 v[34:35], v[116:117], -0.5, v[34:35]
	;; [unrolled: 1-line block ×5, first 2 shown]
	v_add_f64 v[58:59], v[88:89], v[78:79]
	v_add_f64 v[10:11], v[64:65], v[10:11]
	;; [unrolled: 1-line block ×3, first 2 shown]
                                        ; implicit-def: $vgpr82_vgpr83
	v_add_f64 v[62:63], v[92:93], v[84:85]
                                        ; implicit-def: $vgpr84_vgpr85
	v_add_f64 v[78:79], v[94:95], v[86:87]
                                        ; implicit-def: $vgpr86_vgpr87
	v_fma_f64 v[80:81], v[54:55], s[6:7], v[32:33]
	v_fma_f64 v[32:33], v[54:55], s[4:5], v[32:33]
	;; [unrolled: 1-line block ×10, first 2 shown]
	ds_write2_b64 v112, v[58:59], v[80:81] offset1:18
	ds_write_b64 v112, v[32:33] offset:288
	ds_write2_b64 v111, v[10:11], v[54:55] offset1:18
	ds_write_b64 v111, v[34:35] offset:288
	;; [unrolled: 2-line block ×5, first 2 shown]
	s_waitcnt lgkmcnt(0)
	s_barrier
	buffer_gl0_inv
	ds_read2_b64 v[8:11], v67 offset1:126
	ds_read2_b64 v[60:63], v104 offset0:14 offset1:140
	ds_read2_b64 v[56:59], v105 offset0:28 offset1:154
	;; [unrolled: 1-line block ×6, first 2 shown]
                                        ; implicit-def: $vgpr78_vgpr79
                                        ; implicit-def: $vgpr80_vgpr81
	s_and_saveexec_b32 s1, s0
	s_cbranch_execz .LBB0_21
; %bb.20:
	ds_read_b64 v[64:65], v67 offset:2016
	ds_read_b64 v[6:7], v67 offset:4176
	ds_read_b64 v[86:87], v67 offset:6336
	ds_read_b64 v[84:85], v67 offset:8496
	ds_read_b64 v[82:83], v67 offset:10656
	ds_read_b64 v[80:81], v67 offset:12816
	ds_read_b64 v[78:79], v67 offset:14976
.LBB0_21:
	s_or_b32 exec_lo, exec_lo, s1
	v_mul_lo_u16 v88, v98, 19
	v_mul_lo_u16 v89, v99, 19
	v_mov_b32_e32 v92, 6
	v_mov_b32_e32 v136, 0x97b5
	s_mov_b32 s12, 0xe976ee23
	v_lshrrev_b16 v103, 10, v88
	v_lshrrev_b16 v106, 10, v89
	s_mov_b32 s13, 0xbfe11646
	s_mov_b32 s4, 0x429ad128
	;; [unrolled: 1-line block ×3, first 2 shown]
	v_mul_lo_u16 v88, v103, 54
	v_mul_lo_u16 v89, v106, 54
	s_mov_b32 s16, 0x36b3c0b5
	s_mov_b32 s5, 0x3febfeb5
	;; [unrolled: 1-line block ×3, first 2 shown]
	v_sub_nc_u16 v104, v66, v88
	v_sub_nc_u16 v105, v101, v89
	s_mov_b32 s17, 0x3fac98ee
	s_mov_b32 s10, 0xb247c609
	;; [unrolled: 1-line block ×3, first 2 shown]
	v_mul_u32_u24_sdwa v88, v104, v92 dst_sel:DWORD dst_unused:UNUSED_PAD src0_sel:BYTE_0 src1_sel:DWORD
	v_mul_u32_u24_sdwa v92, v105, v92 dst_sel:DWORD dst_unused:UNUSED_PAD src0_sel:BYTE_0 src1_sel:DWORD
	s_mov_b32 s11, 0x3fd5d0dc
	s_mov_b32 s7, 0xbfd5d0dc
	;; [unrolled: 1-line block ×3, first 2 shown]
	v_lshlrev_b32_e32 v107, 4, v88
	v_lshlrev_b32_e32 v142, 4, v92
	s_mov_b32 s15, 0x3fe77f67
	s_mov_b32 s19, 0xbfe77f67
	;; [unrolled: 1-line block ×3, first 2 shown]
	s_clause 0x9
	global_load_dwordx4 v[88:91], v107, s[8:9] offset:832
	global_load_dwordx4 v[92:95], v142, s[8:9] offset:832
	;; [unrolled: 1-line block ×10, first 2 shown]
	v_lshrrev_b16 v107, 1, v100
	s_mov_b32 s24, 0xaaaaaaaa
	s_mov_b32 s25, 0xbff2aaaa
	;; [unrolled: 1-line block ×4, first 2 shown]
	v_mul_u32_u24_sdwa v107, v107, v136 dst_sel:DWORD dst_unused:UNUSED_PAD src0_sel:WORD_0 src1_sel:DWORD
	global_load_dwordx4 v[136:139], v142, s[8:9] offset:912
	s_waitcnt vmcnt(9) lgkmcnt(5)
	v_mul_f64 v[144:145], v[62:63], v[94:95]
	v_mul_f64 v[140:141], v[60:61], v[90:91]
	;; [unrolled: 1-line block ×3, first 2 shown]
	v_fma_f64 v[48:49], v[48:49], v[88:89], -v[140:141]
	v_fma_f64 v[88:89], v[60:61], v[88:89], v[90:91]
	v_lshrrev_b32_e32 v60, 20, v107
	v_mul_lo_u16 v90, v60, 54
	v_fma_f64 v[60:61], v[50:51], v[92:93], -v[144:145]
	v_mul_f64 v[50:51], v[50:51], v[94:95]
	s_waitcnt vmcnt(5) lgkmcnt(3)
	v_mul_f64 v[94:95], v[54:55], v[118:119]
	v_sub_nc_u16 v90, v100, v90
	v_and_b32_e32 v107, 0xffff, v90
	v_mul_u32_u24_e32 v90, 6, v107
	v_lshlrev_b32_e32 v152, 4, v90
	v_mul_f64 v[90:91], v[44:45], v[98:99]
	v_fma_f64 v[50:51], v[62:63], v[92:93], v[50:51]
	s_clause 0x2
	global_load_dwordx4 v[148:151], v152, s[8:9] offset:848
	global_load_dwordx4 v[140:143], v142, s[8:9] offset:880
	;; [unrolled: 1-line block ×3, first 2 shown]
	v_mul_f64 v[62:63], v[56:57], v[98:99]
	v_mul_f64 v[92:93], v[58:59], v[110:111]
	s_waitcnt vmcnt(7) lgkmcnt(1)
	v_mul_f64 v[98:99], v[36:37], v[122:123]
	v_fma_f64 v[90:91], v[56:57], v[96:97], v[90:91]
	v_mul_f64 v[56:57], v[46:47], v[110:111]
	v_fma_f64 v[62:63], v[44:45], v[96:97], -v[62:63]
	v_fma_f64 v[44:45], v[46:47], v[108:109], -v[92:93]
	v_mul_f64 v[92:93], v[52:53], v[114:115]
	v_mul_f64 v[96:97], v[42:43], v[118:119]
	v_fma_f64 v[46:47], v[58:59], v[108:109], v[56:57]
	v_mul_f64 v[58:59], v[40:41], v[114:115]
	global_load_dwordx4 v[108:111], v152, s[8:9] offset:864
	v_fma_f64 v[56:57], v[40:41], v[112:113], -v[92:93]
	v_fma_f64 v[40:41], v[42:43], v[116:117], -v[94:95]
	v_fma_f64 v[42:43], v[54:55], v[116:117], v[96:97]
	s_waitcnt vmcnt(7)
	v_mul_f64 v[54:55], v[38:39], v[126:127]
	v_fma_f64 v[52:53], v[52:53], v[112:113], v[58:59]
	v_mul_f64 v[58:59], v[24:25], v[122:123]
	s_clause 0x1
	global_load_dwordx4 v[112:115], v152, s[8:9] offset:880
	global_load_dwordx4 v[116:119], v152, s[8:9] offset:896
	v_fma_f64 v[24:25], v[24:25], v[120:121], -v[98:99]
	v_fma_f64 v[92:93], v[26:27], v[124:125], -v[54:55]
	v_mul_f64 v[26:27], v[26:27], v[126:127]
	s_waitcnt vmcnt(8) lgkmcnt(0)
	v_mul_f64 v[54:55], v[28:29], v[130:131]
	v_fma_f64 v[36:37], v[36:37], v[120:121], v[58:59]
	global_load_dwordx4 v[120:123], v152, s[8:9] offset:912
	s_waitcnt vmcnt(8)
	v_mul_f64 v[58:59], v[16:17], v[134:135]
	s_waitcnt vmcnt(0)
	s_barrier
	buffer_gl0_inv
	v_fma_f64 v[26:27], v[38:39], v[124:125], v[26:27]
	v_mul_f64 v[38:39], v[32:33], v[134:135]
	v_mul_f64 v[124:125], v[30:31], v[138:139]
	v_fma_f64 v[94:95], v[20:21], v[128:129], -v[54:55]
	v_add_f64 v[54:55], v[62:63], v[24:25]
	v_fma_f64 v[98:99], v[32:33], v[132:133], v[58:59]
	v_mul_f64 v[32:33], v[20:21], v[130:131]
	v_fma_f64 v[96:97], v[16:17], v[132:133], -v[38:39]
	v_fma_f64 v[16:17], v[22:23], v[136:137], -v[124:125]
	v_mul_f64 v[22:23], v[22:23], v[138:139]
	v_add_f64 v[132:133], v[46:47], -v[26:27]
	v_add_f64 v[124:125], v[98:99], -v[52:53]
	v_fma_f64 v[28:29], v[28:29], v[128:129], v[32:33]
	v_add_f64 v[128:129], v[44:45], v[92:93]
	v_add_f64 v[130:131], v[56:57], v[96:97]
	v_fma_f64 v[22:23], v[30:31], v[136:137], v[22:23]
	v_add_f64 v[138:139], v[88:89], -v[28:29]
	v_mul_f64 v[126:127], v[18:19], v[142:143]
	v_mul_f64 v[38:39], v[34:35], v[142:143]
	;; [unrolled: 1-line block ×4, first 2 shown]
	v_fma_f64 v[20:21], v[34:35], v[140:141], v[126:127]
	v_add_f64 v[34:35], v[48:49], v[94:95]
	v_fma_f64 v[18:19], v[18:19], v[140:141], -v[38:39]
	v_add_f64 v[38:39], v[90:91], -v[36:37]
	v_add_f64 v[126:127], v[60:61], v[16:17]
	v_fma_f64 v[30:31], v[2:3], v[144:145], -v[32:33]
	v_fma_f64 v[32:33], v[6:7], v[144:145], v[58:59]
	v_add_f64 v[58:59], v[50:51], -v[22:23]
	v_add_f64 v[136:137], v[20:21], -v[42:43]
	v_add_f64 v[134:135], v[54:55], v[34:35]
	v_add_f64 v[6:7], v[40:41], v[18:19]
	v_add_f64 v[144:145], v[124:125], -v[38:39]
	v_add_f64 v[2:3], v[124:125], v[38:39]
	v_add_f64 v[140:141], v[128:129], v[126:127]
	v_add_f64 v[142:143], v[54:55], -v[34:35]
	v_add_f64 v[34:35], v[34:35], -v[130:131]
	;; [unrolled: 1-line block ×5, first 2 shown]
	v_add_f64 v[130:131], v[130:131], v[134:135]
	v_add_f64 v[134:135], v[136:137], v[132:133]
	v_mul_f64 v[144:145], v[144:145], s[12:13]
	v_add_f64 v[2:3], v[2:3], v[138:139]
	v_add_f64 v[138:139], v[128:129], -v[126:127]
	v_add_f64 v[126:127], v[126:127], -v[6:7]
	;; [unrolled: 1-line block ×3, first 2 shown]
	v_add_f64 v[6:7], v[6:7], v[140:141]
	v_add_f64 v[140:141], v[136:137], -v[132:133]
	v_add_f64 v[132:133], v[132:133], -v[58:59]
	;; [unrolled: 1-line block ×3, first 2 shown]
	v_mul_f64 v[34:35], v[34:35], s[22:23]
	v_add_f64 v[12:13], v[12:13], v[130:131]
	v_add_f64 v[58:59], v[134:135], v[58:59]
	v_mul_f64 v[134:135], v[38:39], s[4:5]
	v_fma_f64 v[146:147], v[38:39], s[4:5], -v[144:145]
	v_mul_f64 v[38:39], v[54:55], s[16:17]
	v_fma_f64 v[144:145], v[124:125], s[10:11], v[144:145]
	v_add_f64 v[14:15], v[14:15], v[6:7]
	v_fma_f64 v[54:55], v[54:55], s[16:17], v[34:35]
	v_fma_f64 v[124:125], v[124:125], s[6:7], -v[134:135]
	v_mul_f64 v[134:135], v[140:141], s[12:13]
	v_fma_f64 v[140:141], v[142:143], s[14:15], -v[38:39]
	v_fma_f64 v[142:143], v[142:143], s[18:19], -v[34:35]
	v_mul_f64 v[34:35], v[132:133], s[4:5]
	v_mul_f64 v[38:39], v[126:127], s[22:23]
	v_fma_f64 v[6:7], v[6:7], s[24:25], v[14:15]
	v_fma_f64 v[144:145], v[2:3], s[20:21], v[144:145]
	;; [unrolled: 1-line block ×4, first 2 shown]
	v_fma_f64 v[126:127], v[132:133], s[4:5], -v[134:135]
	v_fma_f64 v[132:133], v[136:137], s[10:11], v[134:135]
	v_fma_f64 v[134:135], v[136:137], s[6:7], -v[34:35]
	v_mul_f64 v[34:35], v[128:129], s[16:17]
	v_fma_f64 v[128:129], v[128:129], s[16:17], v[38:39]
	v_fma_f64 v[126:127], v[58:59], s[20:21], v[126:127]
	;; [unrolled: 1-line block ×4, first 2 shown]
	v_fma_f64 v[136:137], v[138:139], s[14:15], -v[34:35]
	v_mul_f64 v[34:35], v[86:87], v[150:151]
	v_fma_f64 v[138:139], v[138:139], s[18:19], -v[38:39]
	v_mul_f64 v[38:39], v[76:77], v[150:151]
	v_mul_f64 v[134:135], v[80:81], v[118:119]
	v_mov_b32_e32 v58, 3
	v_lshlrev_b32_sdwa v150, v58, v104 dst_sel:DWORD dst_unused:UNUSED_PAD src0_sel:DWORD src1_sel:BYTE_0
	v_lshlrev_b32_sdwa v151, v58, v105 dst_sel:DWORD dst_unused:UNUSED_PAD src0_sel:DWORD src1_sel:BYTE_0
	v_fma_f64 v[34:35], v[76:77], v[148:149], -v[34:35]
	v_fma_f64 v[76:77], v[130:131], s[24:25], v[12:13]
	v_fma_f64 v[38:39], v[86:87], v[148:149], v[38:39]
	v_mul_f64 v[86:87], v[84:85], v[110:111]
	v_mul_f64 v[110:111], v[74:75], v[110:111]
	;; [unrolled: 1-line block ×4, first 2 shown]
	v_add_f64 v[148:149], v[54:55], v[76:77]
	v_mov_b32_e32 v54, 0xbd0
	v_add_f64 v[140:141], v[140:141], v[76:77]
	v_add_f64 v[142:143], v[142:143], v[76:77]
	v_mul_f64 v[76:77], v[70:71], v[118:119]
	v_add_f64 v[118:119], v[128:129], v[6:7]
	v_add_f64 v[128:129], v[136:137], v[6:7]
	;; [unrolled: 1-line block ×3, first 2 shown]
	v_mul_f64 v[136:137], v[78:79], v[122:123]
	v_mul_u32_u24_sdwa v138, v103, v54 dst_sel:DWORD dst_unused:UNUSED_PAD src0_sel:WORD_0 src1_sel:DWORD
	v_mul_u32_u24_sdwa v139, v106, v54 dst_sel:DWORD dst_unused:UNUSED_PAD src0_sel:WORD_0 src1_sel:DWORD
	v_fma_f64 v[54:55], v[74:75], v[108:109], -v[86:87]
	v_mul_f64 v[86:87], v[4:5], v[122:123]
	v_fma_f64 v[74:75], v[84:85], v[108:109], v[110:111]
	v_fma_f64 v[58:59], v[72:73], v[112:113], -v[130:131]
	v_fma_f64 v[72:73], v[82:83], v[112:113], v[114:115]
	v_fma_f64 v[70:71], v[70:71], v[116:117], -v[134:135]
	v_add3_u32 v84, 0, v138, v150
	v_add3_u32 v83, 0, v139, v151
	v_lshl_add_u32 v82, v107, 3, 0
	v_add_f64 v[108:109], v[144:145], v[148:149]
	v_add_f64 v[110:111], v[148:149], -v[144:145]
	v_add_f64 v[103:104], v[146:147], v[140:141]
	v_add_f64 v[105:106], v[2:3], v[142:143]
	v_fma_f64 v[80:81], v[80:81], v[116:117], v[76:77]
	v_add_f64 v[2:3], v[142:143], -v[2:3]
	v_add_f64 v[116:117], v[124:125], v[118:119]
	v_add_f64 v[112:113], v[128:129], -v[126:127]
	v_fma_f64 v[76:77], v[4:5], v[120:121], -v[136:137]
	v_add_f64 v[4:5], v[140:141], -v[146:147]
	v_add_f64 v[122:123], v[132:133], v[6:7]
	v_add_f64 v[114:115], v[126:127], v[128:129]
	v_fma_f64 v[78:79], v[78:79], v[120:121], v[86:87]
	v_add_f64 v[6:7], v[6:7], -v[132:133]
	v_add_f64 v[118:119], v[118:119], -v[124:125]
	v_add_nc_u32_e32 v86, 0x400, v84
	v_add_nc_u32_e32 v85, 0x400, v83
	ds_write2_b64 v84, v[12:13], v[108:109] offset1:54
	ds_write2_b64 v84, v[105:106], v[4:5] offset0:108 offset1:162
	ds_write2_b64 v86, v[103:104], v[2:3] offset0:88 offset1:142
	ds_write_b64 v84, v[110:111] offset:2592
	ds_write2_b64 v83, v[14:15], v[116:117] offset1:54
	ds_write2_b64 v83, v[122:123], v[112:113] offset0:108 offset1:162
	ds_write2_b64 v85, v[114:115], v[6:7] offset0:88 offset1:142
	ds_write_b64 v83, v[118:119] offset:2592
	s_and_saveexec_b32 s1, s0
	s_cbranch_execz .LBB0_23
; %bb.22:
	v_add_f64 v[2:3], v[34:35], v[70:71]
	v_add_f64 v[4:5], v[30:31], v[76:77]
	v_add_f64 v[6:7], v[72:73], -v[74:75]
	v_add_f64 v[12:13], v[38:39], -v[80:81]
	v_add_f64 v[14:15], v[54:55], v[58:59]
	v_add_f64 v[103:104], v[32:33], -v[78:79]
	v_add_f64 v[105:106], v[2:3], v[4:5]
	v_add_f64 v[107:108], v[6:7], -v[12:13]
	v_add_f64 v[109:110], v[4:5], -v[14:15]
	;; [unrolled: 1-line block ×3, first 2 shown]
	v_add_f64 v[12:13], v[6:7], v[12:13]
	v_add_f64 v[6:7], v[103:104], -v[6:7]
	v_add_f64 v[105:106], v[14:15], v[105:106]
	v_add_f64 v[14:15], v[14:15], -v[2:3]
	v_add_f64 v[2:3], v[2:3], -v[4:5]
	v_mul_f64 v[4:5], v[107:108], s[12:13]
	v_mul_f64 v[107:108], v[109:110], s[22:23]
	;; [unrolled: 1-line block ×3, first 2 shown]
	v_add_f64 v[12:13], v[12:13], v[103:104]
	v_add_f64 v[0:1], v[0:1], v[105:106]
	v_mul_f64 v[113:114], v[14:15], s[16:17]
	v_fma_f64 v[103:104], v[6:7], s[10:11], v[4:5]
	v_fma_f64 v[14:15], v[14:15], s[16:17], v[107:108]
	v_fma_f64 v[115:116], v[2:3], s[18:19], -v[107:108]
	v_fma_f64 v[6:7], v[6:7], s[6:7], -v[109:110]
	;; [unrolled: 1-line block ×3, first 2 shown]
	v_fma_f64 v[105:106], v[105:106], s[24:25], v[0:1]
	v_fma_f64 v[2:3], v[2:3], s[14:15], -v[113:114]
	v_fma_f64 v[103:104], v[12:13], s[20:21], v[103:104]
	v_fma_f64 v[6:7], v[12:13], s[20:21], v[6:7]
	;; [unrolled: 1-line block ×3, first 2 shown]
	v_add_f64 v[14:15], v[14:15], v[105:106]
	v_add_f64 v[12:13], v[115:116], v[105:106]
	;; [unrolled: 1-line block ×4, first 2 shown]
	v_add_f64 v[105:106], v[12:13], -v[6:7]
	v_add_f64 v[107:108], v[2:3], -v[4:5]
	v_add_f64 v[6:7], v[6:7], v[12:13]
	v_add_f64 v[2:3], v[4:5], v[2:3]
	v_add_f64 v[4:5], v[14:15], -v[103:104]
	v_add_nc_u32_e32 v12, 0x2c00, v82
	v_add_nc_u32_e32 v13, 0x3000, v82
	ds_write2_b64 v12, v[0:1], v[109:110] offset0:104 offset1:158
	ds_write2_b64 v13, v[6:7], v[107:108] offset0:84 offset1:138
	;; [unrolled: 1-line block ×3, first 2 shown]
	ds_write_b64 v82, v[4:5] offset:14688
.LBB0_23:
	s_or_b32 exec_lo, exec_lo, s1
	v_add_f64 v[0:1], v[88:89], v[28:29]
	v_add_f64 v[2:3], v[90:91], v[36:37]
	;; [unrolled: 1-line block ×5, first 2 shown]
	v_add_f64 v[14:15], v[62:63], -v[24:25]
	v_add_f64 v[22:23], v[96:97], -v[56:57]
	;; [unrolled: 1-line block ×4, first 2 shown]
	v_add_f64 v[20:21], v[42:43], v[20:21]
	v_add_f64 v[18:19], v[18:19], -v[40:41]
	v_add_f64 v[16:17], v[60:61], -v[16:17]
	v_add_nc_u32_e32 v93, 0x2c00, v67
	v_add_nc_u32_e32 v94, 0xc00, v67
	;; [unrolled: 1-line block ×3, first 2 shown]
	s_waitcnt lgkmcnt(0)
	s_barrier
	buffer_gl0_inv
	v_add_f64 v[26:27], v[2:3], v[0:1]
	v_add_f64 v[36:37], v[6:7], v[4:5]
	v_add_f64 v[40:41], v[0:1], -v[12:13]
	v_add_f64 v[42:43], v[12:13], -v[2:3]
	;; [unrolled: 1-line block ×5, first 2 shown]
	v_add_f64 v[2:3], v[22:23], v[14:15]
	v_add_f64 v[48:49], v[18:19], -v[28:29]
	v_add_f64 v[50:51], v[28:29], -v[16:17]
	;; [unrolled: 1-line block ×3, first 2 shown]
	v_add_f64 v[22:23], v[18:19], v[28:29]
	v_add_f64 v[12:13], v[12:13], v[26:27]
	v_add_f64 v[26:27], v[4:5], -v[20:21]
	v_add_f64 v[36:37], v[20:21], v[36:37]
	v_add_f64 v[20:21], v[20:21], -v[6:7]
	v_mul_f64 v[28:29], v[40:41], s[22:23]
	v_mul_f64 v[44:45], v[44:45], s[12:13]
	;; [unrolled: 1-line block ×4, first 2 shown]
	v_add_f64 v[4:5], v[6:7], -v[4:5]
	v_add_f64 v[2:3], v[2:3], v[24:25]
	v_add_f64 v[56:57], v[8:9], v[12:13]
	v_add_f64 v[8:9], v[16:17], -v[18:19]
	v_mul_f64 v[18:19], v[26:27], s[22:23]
	v_mul_f64 v[26:27], v[48:49], s[12:13]
	;; [unrolled: 1-line block ×3, first 2 shown]
	v_add_f64 v[60:61], v[10:11], v[36:37]
	v_mul_f64 v[6:7], v[20:21], s[16:17]
	v_add_f64 v[10:11], v[22:23], v[16:17]
	v_fma_f64 v[16:17], v[42:43], s[16:17], v[28:29]
	v_fma_f64 v[24:25], v[14:15], s[10:11], v[44:45]
	v_fma_f64 v[22:23], v[0:1], s[14:15], -v[40:41]
	v_fma_f64 v[40:41], v[46:47], s[4:5], -v[44:45]
	;; [unrolled: 1-line block ×4, first 2 shown]
	v_fma_f64 v[12:13], v[12:13], s[24:25], v[56:57]
	v_fma_f64 v[20:21], v[20:21], s[16:17], v[18:19]
	;; [unrolled: 1-line block ×3, first 2 shown]
	v_fma_f64 v[26:27], v[50:51], s[4:5], -v[26:27]
	v_fma_f64 v[8:9], v[8:9], s[6:7], -v[48:49]
	v_fma_f64 v[36:37], v[36:37], s[24:25], v[60:61]
	v_fma_f64 v[18:19], v[4:5], s[18:19], -v[18:19]
	v_fma_f64 v[4:5], v[4:5], s[14:15], -v[6:7]
	v_fma_f64 v[24:25], v[2:3], s[20:21], v[24:25]
	v_fma_f64 v[40:41], v[2:3], s[20:21], v[40:41]
	;; [unrolled: 1-line block ×3, first 2 shown]
	v_add_f64 v[16:17], v[16:17], v[12:13]
	v_add_f64 v[44:45], v[0:1], v[12:13]
	;; [unrolled: 1-line block ×3, first 2 shown]
	v_fma_f64 v[46:47], v[10:11], s[20:21], v[28:29]
	v_fma_f64 v[26:27], v[10:11], s[20:21], v[26:27]
	;; [unrolled: 1-line block ×3, first 2 shown]
	v_add_f64 v[20:21], v[20:21], v[36:37]
	v_add_f64 v[18:19], v[18:19], v[36:37]
	;; [unrolled: 1-line block ×3, first 2 shown]
	v_add_nc_u32_e32 v4, 0x400, v67
	v_add_nc_u32_e32 v8, 0x1400, v67
	;; [unrolled: 1-line block ×3, first 2 shown]
	ds_read2_b64 v[0:3], v67 offset1:126
	ds_read_b64 v[28:29], v67 offset:14112
	ds_read2_b64 v[4:7], v4 offset0:124 offset1:250
	ds_read2_b64 v[8:11], v8 offset0:116 offset1:242
	;; [unrolled: 1-line block ×3, first 2 shown]
	v_add_f64 v[50:51], v[16:17], -v[24:25]
	v_add_f64 v[52:53], v[44:45], -v[42:43]
	v_add_f64 v[62:63], v[40:41], v[22:23]
	v_add_f64 v[40:41], v[22:23], -v[40:41]
	v_add_f64 v[42:43], v[42:43], v[44:45]
	v_add_f64 v[44:45], v[24:25], v[16:17]
	v_add_f64 v[87:88], v[20:21], -v[46:47]
	v_add_f64 v[89:90], v[18:19], -v[48:49]
	v_add_f64 v[91:92], v[26:27], v[36:37]
	v_add_f64 v[36:37], v[36:37], -v[26:27]
	v_add_f64 v[48:49], v[48:49], v[18:19]
	v_add_f64 v[46:47], v[46:47], v[20:21]
	ds_read2_b64 v[16:19], v93 offset0:104 offset1:230
	ds_read2_b64 v[24:27], v94 offset0:120 offset1:246
	;; [unrolled: 1-line block ×3, first 2 shown]
	s_waitcnt lgkmcnt(0)
	s_barrier
	buffer_gl0_inv
	ds_write2_b64 v84, v[56:57], v[50:51] offset1:54
	ds_write2_b64 v84, v[52:53], v[62:63] offset0:108 offset1:162
	ds_write2_b64 v86, v[40:41], v[42:43] offset0:88 offset1:142
	ds_write_b64 v84, v[44:45] offset:2592
	ds_write2_b64 v83, v[60:61], v[87:88] offset1:54
	ds_write2_b64 v83, v[89:90], v[91:92] offset0:108 offset1:162
	ds_write2_b64 v85, v[36:37], v[48:49] offset0:88 offset1:142
	ds_write_b64 v83, v[46:47] offset:2592
	s_and_saveexec_b32 s1, s0
	s_cbranch_execz .LBB0_25
; %bb.24:
	v_add_f64 v[32:33], v[32:33], v[78:79]
	v_add_f64 v[36:37], v[38:39], v[80:81]
	;; [unrolled: 1-line block ×3, first 2 shown]
	v_add_f64 v[34:35], v[34:35], -v[70:71]
	v_add_f64 v[40:41], v[58:59], -v[54:55]
	;; [unrolled: 1-line block ×3, first 2 shown]
	s_mov_b32 s4, 0x37e14327
	s_mov_b32 s5, 0x3fe948f6
	;; [unrolled: 1-line block ×10, first 2 shown]
	v_add_f64 v[42:43], v[36:37], v[32:33]
	v_add_f64 v[44:45], v[32:33], -v[38:39]
	v_add_f64 v[46:47], v[38:39], -v[36:37]
	;; [unrolled: 1-line block ×5, first 2 shown]
	v_add_f64 v[34:35], v[40:41], v[34:35]
	v_add_f64 v[36:37], v[30:31], -v[40:41]
	v_add_f64 v[38:39], v[38:39], v[42:43]
	v_mul_f64 v[40:41], v[44:45], s[4:5]
	s_mov_b32 s4, 0x429ad128
	v_mul_f64 v[42:43], v[46:47], s[6:7]
	v_mul_f64 v[44:45], v[48:49], s[10:11]
	s_mov_b32 s5, 0x3febfeb5
	s_mov_b32 s10, 0xaaaaaaaa
	v_mul_f64 v[48:49], v[50:51], s[4:5]
	s_mov_b32 s11, 0xbff2aaaa
	v_add_f64 v[30:31], v[34:35], v[30:31]
	v_add_f64 v[52:53], v[64:65], v[38:39]
	v_fma_f64 v[34:35], v[46:47], s[6:7], v[40:41]
	v_fma_f64 v[42:43], v[32:33], s[12:13], -v[42:43]
	s_mov_b32 s13, 0xbfe77f67
	v_fma_f64 v[46:47], v[36:37], s[14:15], v[44:45]
	s_mov_b32 s15, 0xbfd5d0dc
	v_fma_f64 v[44:45], v[50:51], s[4:5], -v[44:45]
	v_fma_f64 v[36:37], v[36:37], s[14:15], -v[48:49]
	;; [unrolled: 1-line block ×3, first 2 shown]
	s_mov_b32 s4, 0x37c3f68c
	s_mov_b32 s5, 0x3fdc38aa
	v_fma_f64 v[38:39], v[38:39], s[10:11], v[52:53]
	v_fma_f64 v[40:41], v[30:31], s[4:5], v[46:47]
	;; [unrolled: 1-line block ×4, first 2 shown]
	v_add_f64 v[34:35], v[34:35], v[38:39]
	v_add_f64 v[32:33], v[32:33], v[38:39]
	;; [unrolled: 1-line block ×3, first 2 shown]
	v_add_f64 v[38:39], v[34:35], -v[40:41]
	v_add_f64 v[42:43], v[32:33], -v[30:31]
	v_add_f64 v[46:47], v[44:45], v[36:37]
	v_add_f64 v[36:37], v[36:37], -v[44:45]
	v_add_f64 v[30:31], v[30:31], v[32:33]
	v_add_f64 v[32:33], v[40:41], v[34:35]
	v_add_nc_u32_e32 v34, 0x2c00, v82
	v_add_nc_u32_e32 v35, 0x3000, v82
	ds_write2_b64 v34, v[52:53], v[38:39] offset0:104 offset1:158
	ds_write2_b64 v35, v[42:43], v[46:47] offset0:84 offset1:138
	ds_write2_b64 v35, v[36:37], v[30:31] offset0:192 offset1:246
	ds_write_b64 v82, v[32:33] offset:14688
.LBB0_25:
	s_or_b32 exec_lo, exec_lo, s1
	s_waitcnt lgkmcnt(0)
	s_barrier
	buffer_gl0_inv
	s_and_saveexec_b32 s0, vcc_lo
	s_cbranch_execz .LBB0_27
; %bb.26:
	v_lshlrev_b32_e32 v30, 2, v100
	v_mov_b32_e32 v31, 0
	v_add_nc_u32_e32 v105, 0x400, v67
	v_add_nc_u32_e32 v106, 0x1400, v67
	;; [unrolled: 1-line block ×3, first 2 shown]
	v_mul_hi_u32 v107, 0xad602b59, v102
	v_lshlrev_b64 v[32:33], 4, v[30:31]
	v_lshlrev_b32_e32 v30, 2, v101
	s_mov_b32 s11, 0x3fee6f0e
	s_mov_b32 s4, 0x4755a5e
	;; [unrolled: 1-line block ×4, first 2 shown]
	v_add_co_u32 v32, vcc_lo, s8, v32
	v_add_co_ci_u32_e32 v33, vcc_lo, s9, v33, vcc_lo
	v_lshlrev_b64 v[40:41], 4, v[30:31]
	v_add_co_u32 v44, vcc_lo, 0x1780, v32
	v_lshlrev_b32_e32 v30, 2, v66
	v_add_co_ci_u32_e32 v45, vcc_lo, 0, v33, vcc_lo
	v_add_co_u32 v36, vcc_lo, 0x1000, v32
	v_add_co_ci_u32_e32 v37, vcc_lo, 0, v33, vcc_lo
	v_lshlrev_b64 v[48:49], 4, v[30:31]
	v_add_co_u32 v30, vcc_lo, s8, v40
	v_add_co_ci_u32_e32 v51, vcc_lo, s9, v41, vcc_lo
	s_clause 0x1
	global_load_dwordx4 v[32:35], v[44:45], off offset:48
	global_load_dwordx4 v[36:39], v[36:37], off offset:1920
	v_add_co_u32 v60, vcc_lo, 0x1780, v30
	v_add_co_ci_u32_e32 v61, vcc_lo, 0, v51, vcc_lo
	v_add_co_u32 v50, vcc_lo, 0x1000, v30
	v_add_co_ci_u32_e32 v51, vcc_lo, 0, v51, vcc_lo
	v_add_co_u32 v30, vcc_lo, s8, v48
	s_clause 0x1
	global_load_dwordx4 v[40:43], v[44:45], off offset:32
	global_load_dwordx4 v[44:47], v[44:45], off offset:16
	v_add_co_ci_u32_e32 v70, vcc_lo, s9, v49, vcc_lo
	s_clause 0x3
	global_load_dwordx4 v[48:51], v[50:51], off offset:1920
	global_load_dwordx4 v[52:55], v[60:61], off offset:48
	;; [unrolled: 1-line block ×4, first 2 shown]
	v_add_co_u32 v64, vcc_lo, 0x1780, v30
	v_add_co_ci_u32_e32 v65, vcc_lo, 0, v70, vcc_lo
	v_add_co_u32 v78, vcc_lo, 0x1000, v30
	v_add_co_ci_u32_e32 v79, vcc_lo, 0, v70, vcc_lo
	s_clause 0x3
	global_load_dwordx4 v[70:73], v[64:65], off offset:16
	global_load_dwordx4 v[74:77], v[64:65], off offset:48
	;; [unrolled: 1-line block ×4, first 2 shown]
	v_add_nc_u32_e32 v30, 0x1c00, v67
	v_add_nc_u32_e32 v64, 0xc00, v67
	;; [unrolled: 1-line block ×3, first 2 shown]
	ds_read_b64 v[98:99], v67 offset:14112
	ds_read2_b64 v[86:89], v67 offset1:126
	v_mov_b32_e32 v67, v31
	v_add_co_u32 v127, vcc_lo, s2, v68
	v_add_co_ci_u32_e32 v128, vcc_lo, s3, v69, vcc_lo
	v_lshlrev_b64 v[68:69], 4, v[66:67]
	ds_read2_b64 v[90:93], v30 offset0:112 offset1:238
	ds_read2_b64 v[94:97], v64 offset0:120 offset1:246
	;; [unrolled: 1-line block ×3, first 2 shown]
	v_lshrrev_b32_e32 v30, 7, v107
	ds_read2_b64 v[64:67], v105 offset0:124 offset1:250
	ds_read2_b64 v[105:108], v106 offset0:116 offset1:242
	;; [unrolled: 1-line block ×3, first 2 shown]
	s_mov_b32 s8, 0x134454ff
	s_mov_b32 s9, 0xbfee6f0e
	v_add_co_u32 v68, vcc_lo, v127, v68
	v_add_co_ci_u32_e32 v69, vcc_lo, v128, v69, vcc_lo
	v_mad_u32_u24 v30, 0x5e8, v30, v100
	v_add_co_u32 v113, vcc_lo, 0x1000, v68
	v_add_co_ci_u32_e32 v114, vcc_lo, 0, v69, vcc_lo
	v_add_co_u32 v115, vcc_lo, 0x2800, v68
	v_add_co_ci_u32_e32 v116, vcc_lo, 0, v69, vcc_lo
	;; [unrolled: 2-line block ×5, first 2 shown]
	v_lshlrev_b64 v[30:31], 4, v[30:31]
	v_add_co_u32 v123, vcc_lo, 0x3000, v68
	v_add_co_ci_u32_e32 v124, vcc_lo, 0, v69, vcc_lo
	v_add_co_u32 v125, vcc_lo, 0x4800, v68
	v_add_co_ci_u32_e32 v126, vcc_lo, 0, v69, vcc_lo
	;; [unrolled: 2-line block ×3, first 2 shown]
	s_mov_b32 s10, s8
	s_mov_b32 s6, s4
	s_mov_b32 s0, 0x372fe950
	s_mov_b32 s1, 0x3fd3c6ef
	v_add_co_u32 v129, vcc_lo, 0x6000, v68
	v_add_co_ci_u32_e32 v130, vcc_lo, 0, v69, vcc_lo
	v_add_co_u32 v131, vcc_lo, 0x1000, v127
	v_add_co_ci_u32_e32 v132, vcc_lo, 0, v128, vcc_lo
	s_waitcnt vmcnt(11) lgkmcnt(7)
	v_mul_f64 v[30:31], v[32:33], v[98:99]
	v_mul_f64 v[98:99], v[34:35], v[98:99]
	s_waitcnt vmcnt(10) lgkmcnt(4)
	v_mul_f64 v[133:134], v[36:37], v[96:97]
	v_mul_f64 v[96:97], v[38:39], v[96:97]
	s_waitcnt vmcnt(9) lgkmcnt(3)
	v_mul_f64 v[137:138], v[40:41], v[103:104]
	s_waitcnt vmcnt(8)
	v_mul_f64 v[135:136], v[44:45], v[90:91]
	v_mul_f64 v[90:91], v[46:47], v[90:91]
	;; [unrolled: 1-line block ×3, first 2 shown]
	s_waitcnt vmcnt(4) lgkmcnt(1)
	v_mul_f64 v[139:140], v[60:61], v[107:108]
	v_mul_f64 v[141:142], v[48:49], v[94:95]
	;; [unrolled: 1-line block ×3, first 2 shown]
	s_waitcnt lgkmcnt(0)
	v_mul_f64 v[145:146], v[52:53], v[111:112]
	v_mul_f64 v[94:95], v[50:51], v[94:95]
	;; [unrolled: 1-line block ×5, first 2 shown]
	s_waitcnt vmcnt(3)
	v_mul_f64 v[147:148], v[70:71], v[105:106]
	s_waitcnt vmcnt(2)
	v_mul_f64 v[149:150], v[74:75], v[109:110]
	v_mul_f64 v[109:110], v[76:77], v[109:110]
	s_waitcnt vmcnt(1)
	v_mul_f64 v[151:152], v[78:79], v[66:67]
	;; [unrolled: 3-line block ×3, first 2 shown]
	v_mul_f64 v[92:93], v[84:85], v[92:93]
	v_mul_f64 v[66:67], v[80:81], v[66:67]
	v_fma_f64 v[30:31], v[28:29], v[34:35], v[30:31]
	v_fma_f64 v[28:29], v[28:29], v[32:33], -v[98:99]
	v_fma_f64 v[32:33], v[26:27], v[38:39], v[133:134]
	v_fma_f64 v[34:35], v[12:13], v[46:47], v[135:136]
	;; [unrolled: 1-line block ×3, first 2 shown]
	v_fma_f64 v[26:27], v[26:27], v[36:37], -v[96:97]
	v_fma_f64 v[12:13], v[12:13], v[44:45], -v[90:91]
	;; [unrolled: 1-line block ×3, first 2 shown]
	v_fma_f64 v[36:37], v[10:11], v[62:63], v[139:140]
	v_fma_f64 v[40:41], v[24:25], v[50:51], v[141:142]
	v_fma_f64 v[42:43], v[20:21], v[58:59], v[143:144]
	v_fma_f64 v[44:45], v[18:19], v[54:55], v[145:146]
	v_fma_f64 v[24:25], v[24:25], v[48:49], -v[94:95]
	v_fma_f64 v[18:19], v[18:19], v[52:53], -v[111:112]
	;; [unrolled: 1-line block ×4, first 2 shown]
	v_fma_f64 v[46:47], v[8:9], v[72:73], v[147:148]
	v_fma_f64 v[48:49], v[6:7], v[80:81], v[151:152]
	;; [unrolled: 1-line block ×4, first 2 shown]
	v_fma_f64 v[16:17], v[16:17], v[74:75], -v[109:110]
	v_fma_f64 v[6:7], v[6:7], v[78:79], -v[66:67]
	;; [unrolled: 1-line block ×4, first 2 shown]
	v_add_f64 v[58:59], v[32:33], v[30:31]
	v_add_f64 v[54:55], v[34:35], -v[32:33]
	v_add_f64 v[56:57], v[38:39], -v[30:31]
	;; [unrolled: 1-line block ×10, first 2 shown]
	v_add_f64 v[66:67], v[34:35], v[38:39]
	v_add_f64 v[70:71], v[32:33], v[64:65]
	v_add_f64 v[72:73], v[12:13], -v[26:27]
	v_add_f64 v[74:75], v[22:23], -v[28:29]
	v_add_f64 v[76:77], v[26:27], v[28:29]
	v_add_f64 v[84:85], v[4:5], v[26:27]
	;; [unrolled: 1-line block ×9, first 2 shown]
	v_add_f64 v[110:111], v[10:11], -v[24:25]
	v_add_f64 v[133:134], v[20:21], -v[18:19]
	;; [unrolled: 1-line block ×4, first 2 shown]
	v_add_f64 v[149:150], v[48:49], v[50:51]
	v_add_f64 v[151:152], v[46:47], v[52:53]
	v_add_f64 v[54:55], v[54:55], v[56:57]
	v_add_f64 v[56:57], v[48:49], v[86:87]
	v_add_f64 v[80:81], v[80:81], v[82:83]
	v_add_f64 v[82:83], v[6:7], v[16:17]
	v_add_f64 v[100:101], v[100:101], v[102:103]
	v_add_f64 v[102:103], v[8:9], v[14:15]
	v_add_f64 v[104:105], v[104:105], v[106:107]
	v_add_f64 v[106:107], v[0:1], v[6:7]
	v_add_f64 v[26:27], v[26:27], -v[28:29]
	v_add_f64 v[90:91], v[12:13], -v[22:23]
	;; [unrolled: 1-line block ×7, first 2 shown]
	v_fma_f64 v[58:59], v[58:59], -0.5, v[64:65]
	v_fma_f64 v[64:65], v[66:67], -0.5, v[64:65]
	;; [unrolled: 1-line block ×3, first 2 shown]
	v_add_f64 v[60:61], v[60:61], v[62:63]
	v_add_f64 v[62:63], v[8:9], -v[6:7]
	v_add_f64 v[72:73], v[72:73], v[74:75]
	v_add_f64 v[74:75], v[14:15], -v[16:17]
	;; [unrolled: 2-line block ×4, first 2 shown]
	v_fma_f64 v[6:7], v[94:95], -0.5, v[88:89]
	v_fma_f64 v[88:89], v[96:97], -0.5, v[88:89]
	v_add_f64 v[36:37], v[36:37], v[108:109]
	v_fma_f64 v[94:95], v[139:140], -0.5, v[2:3]
	v_fma_f64 v[2:3], v[143:144], -0.5, v[2:3]
	v_add_f64 v[10:11], v[10:11], v[141:142]
	v_add_f64 v[66:67], v[46:47], -v[48:49]
	v_fma_f64 v[4:5], v[78:79], -0.5, v[4:5]
	v_add_f64 v[78:79], v[48:49], -v[46:47]
	v_add_f64 v[110:111], v[110:111], v[133:134]
	v_add_f64 v[133:134], v[8:9], -v[14:15]
	v_add_f64 v[135:136], v[135:136], v[137:138]
	v_add_f64 v[137:138], v[46:47], -v[52:53]
	v_add_f64 v[48:49], v[48:49], -v[50:51]
	v_fma_f64 v[96:97], v[149:150], -0.5, v[86:87]
	v_fma_f64 v[86:87], v[151:152], -0.5, v[86:87]
	v_add_f64 v[46:47], v[46:47], v[56:57]
	v_fma_f64 v[56:57], v[82:83], -0.5, v[0:1]
	v_fma_f64 v[0:1], v[102:103], -0.5, v[0:1]
	v_add_f64 v[8:9], v[8:9], v[106:107]
	v_add_f64 v[32:33], v[32:33], -v[30:31]
	v_add_f64 v[70:71], v[16:17], -v[14:15]
	v_add_f64 v[62:63], v[62:63], v[74:75]
	v_fma_f64 v[74:75], v[90:91], s[8:9], v[58:59]
	v_fma_f64 v[58:59], v[90:91], s[10:11], v[58:59]
	;; [unrolled: 1-line block ×3, first 2 shown]
	v_add_f64 v[34:35], v[38:39], v[34:35]
	v_fma_f64 v[38:39], v[92:93], s[10:11], v[76:77]
	v_fma_f64 v[76:77], v[92:93], s[8:9], v[76:77]
	v_add_f64 v[12:13], v[12:13], v[22:23]
	v_fma_f64 v[22:23], v[145:146], s[8:9], v[6:7]
	v_fma_f64 v[6:7], v[145:146], s[10:11], v[6:7]
	;; [unrolled: 1-line block ×4, first 2 shown]
	v_add_f64 v[36:37], v[42:43], v[36:37]
	v_fma_f64 v[42:43], v[147:148], s[10:11], v[94:95]
	v_fma_f64 v[94:95], v[147:148], s[8:9], v[94:95]
	;; [unrolled: 1-line block ×3, first 2 shown]
	v_add_f64 v[10:11], v[10:11], v[20:21]
	v_fma_f64 v[20:21], v[40:41], s[8:9], v[2:3]
	v_add_f64 v[155:156], v[50:51], -v[52:53]
	v_add_f64 v[8:9], v[8:9], v[14:15]
	v_fma_f64 v[14:15], v[157:158], s[10:11], v[86:87]
	v_fma_f64 v[86:87], v[157:158], s[8:9], v[86:87]
	;; [unrolled: 1-line block ×3, first 2 shown]
	v_add_f64 v[153:154], v[52:53], -v[50:51]
	v_add_f64 v[46:47], v[52:53], v[46:47]
	v_fma_f64 v[52:53], v[133:134], s[8:9], v[96:97]
	v_fma_f64 v[96:97], v[133:134], s[10:11], v[96:97]
	;; [unrolled: 1-line block ×4, first 2 shown]
	v_add_f64 v[70:71], v[84:85], v[70:71]
	v_fma_f64 v[64:65], v[26:27], s[8:9], v[64:65]
	v_fma_f64 v[84:85], v[32:33], s[8:9], v[4:5]
	;; [unrolled: 1-line block ×9, first 2 shown]
	v_add_f64 v[0:1], v[12:13], v[28:29]
	v_fma_f64 v[12:13], v[24:25], s[4:5], v[22:23]
	v_fma_f64 v[24:25], v[24:25], s[6:7], v[6:7]
	;; [unrolled: 1-line block ×3, first 2 shown]
	v_add_f64 v[6:7], v[44:45], v[36:37]
	v_fma_f64 v[36:37], v[40:41], s[6:7], v[42:43]
	v_fma_f64 v[40:41], v[40:41], s[4:5], v[94:95]
	;; [unrolled: 1-line block ×5, first 2 shown]
	v_add_f64 v[78:79], v[78:79], v[155:156]
	v_fma_f64 v[86:87], v[133:134], s[6:7], v[86:87]
	v_fma_f64 v[94:95], v[137:138], s[4:5], v[139:140]
	v_add_f64 v[66:67], v[66:67], v[153:154]
	v_fma_f64 v[88:89], v[157:158], s[6:7], v[96:97]
	v_fma_f64 v[96:97], v[48:49], s[4:5], v[56:57]
	;; [unrolled: 1-line block ×9, first 2 shown]
	v_add_f64 v[4:5], v[10:11], v[18:19]
	v_add_f64 v[10:11], v[50:51], v[46:47]
	;; [unrolled: 1-line block ×3, first 2 shown]
	v_fma_f64 v[42:43], v[104:105], s[0:1], v[32:33]
	v_add_f64 v[2:3], v[30:31], v[34:35]
	v_fma_f64 v[32:33], v[110:111], s[0:1], v[40:41]
	v_fma_f64 v[40:41], v[135:136], s[0:1], v[44:45]
	;; [unrolled: 1-line block ×22, first 2 shown]
	v_add_co_u32 v98, vcc_lo, 0x2800, v127
	v_fma_f64 v[20:21], v[80:81], s[0:1], v[84:85]
	v_add_co_ci_u32_e32 v99, vcc_lo, 0, v128, vcc_lo
	v_add_co_u32 v60, vcc_lo, 0x4000, v127
	v_add_co_ci_u32_e32 v61, vcc_lo, 0, v128, vcc_lo
	v_add_co_u32 v62, vcc_lo, 0x5800, v127
	v_add_co_ci_u32_e32 v63, vcc_lo, 0, v128, vcc_lo
	global_store_dwordx4 v[68:69], v[4:7], off offset:2016
	global_store_dwordx4 v[68:69], v[8:11], off
	global_store_dwordx4 v[121:122], v[40:43], off offset:1920
	global_store_dwordx4 v[123:124], v[32:35], off offset:1824
	global_store_dwordx4 v[125:126], v[28:31], off offset:1728
	global_store_dwordx4 v[129:130], v[36:39], off offset:1632
	global_store_dwordx4 v[113:114], v[56:59], off offset:1952
	global_store_dwordx4 v[115:116], v[48:51], off offset:1856
	global_store_dwordx4 v[117:118], v[44:47], off offset:1760
	global_store_dwordx4 v[119:120], v[52:55], off offset:1664
	global_store_dwordx4 v[127:128], v[0:3], off
	global_store_dwordx4 v[131:132], v[24:27], off offset:1952
	global_store_dwordx4 v[98:99], v[16:19], off offset:1856
	;; [unrolled: 1-line block ×4, first 2 shown]
.LBB0_27:
	s_endpgm
	.section	.rodata,"a",@progbits
	.p2align	6, 0x0
	.amdhsa_kernel fft_rtc_fwd_len1890_factors_2_3_3_3_7_5_wgs_126_tpt_126_halfLds_dp_ip_CI_unitstride_sbrr_dirReg
		.amdhsa_group_segment_fixed_size 0
		.amdhsa_private_segment_fixed_size 0
		.amdhsa_kernarg_size 88
		.amdhsa_user_sgpr_count 6
		.amdhsa_user_sgpr_private_segment_buffer 1
		.amdhsa_user_sgpr_dispatch_ptr 0
		.amdhsa_user_sgpr_queue_ptr 0
		.amdhsa_user_sgpr_kernarg_segment_ptr 1
		.amdhsa_user_sgpr_dispatch_id 0
		.amdhsa_user_sgpr_flat_scratch_init 0
		.amdhsa_user_sgpr_private_segment_size 0
		.amdhsa_wavefront_size32 1
		.amdhsa_uses_dynamic_stack 0
		.amdhsa_system_sgpr_private_segment_wavefront_offset 0
		.amdhsa_system_sgpr_workgroup_id_x 1
		.amdhsa_system_sgpr_workgroup_id_y 0
		.amdhsa_system_sgpr_workgroup_id_z 0
		.amdhsa_system_sgpr_workgroup_info 0
		.amdhsa_system_vgpr_workitem_id 0
		.amdhsa_next_free_vgpr 159
		.amdhsa_next_free_sgpr 26
		.amdhsa_reserve_vcc 1
		.amdhsa_reserve_flat_scratch 0
		.amdhsa_float_round_mode_32 0
		.amdhsa_float_round_mode_16_64 0
		.amdhsa_float_denorm_mode_32 3
		.amdhsa_float_denorm_mode_16_64 3
		.amdhsa_dx10_clamp 1
		.amdhsa_ieee_mode 1
		.amdhsa_fp16_overflow 0
		.amdhsa_workgroup_processor_mode 1
		.amdhsa_memory_ordered 1
		.amdhsa_forward_progress 0
		.amdhsa_shared_vgpr_count 0
		.amdhsa_exception_fp_ieee_invalid_op 0
		.amdhsa_exception_fp_denorm_src 0
		.amdhsa_exception_fp_ieee_div_zero 0
		.amdhsa_exception_fp_ieee_overflow 0
		.amdhsa_exception_fp_ieee_underflow 0
		.amdhsa_exception_fp_ieee_inexact 0
		.amdhsa_exception_int_div_zero 0
	.end_amdhsa_kernel
	.text
.Lfunc_end0:
	.size	fft_rtc_fwd_len1890_factors_2_3_3_3_7_5_wgs_126_tpt_126_halfLds_dp_ip_CI_unitstride_sbrr_dirReg, .Lfunc_end0-fft_rtc_fwd_len1890_factors_2_3_3_3_7_5_wgs_126_tpt_126_halfLds_dp_ip_CI_unitstride_sbrr_dirReg
                                        ; -- End function
	.section	.AMDGPU.csdata,"",@progbits
; Kernel info:
; codeLenInByte = 13644
; NumSgprs: 28
; NumVgprs: 159
; ScratchSize: 0
; MemoryBound: 1
; FloatMode: 240
; IeeeMode: 1
; LDSByteSize: 0 bytes/workgroup (compile time only)
; SGPRBlocks: 3
; VGPRBlocks: 19
; NumSGPRsForWavesPerEU: 28
; NumVGPRsForWavesPerEU: 159
; Occupancy: 6
; WaveLimiterHint : 1
; COMPUTE_PGM_RSRC2:SCRATCH_EN: 0
; COMPUTE_PGM_RSRC2:USER_SGPR: 6
; COMPUTE_PGM_RSRC2:TRAP_HANDLER: 0
; COMPUTE_PGM_RSRC2:TGID_X_EN: 1
; COMPUTE_PGM_RSRC2:TGID_Y_EN: 0
; COMPUTE_PGM_RSRC2:TGID_Z_EN: 0
; COMPUTE_PGM_RSRC2:TIDIG_COMP_CNT: 0
	.text
	.p2alignl 6, 3214868480
	.fill 48, 4, 3214868480
	.type	__hip_cuid_395bbb737557039b,@object ; @__hip_cuid_395bbb737557039b
	.section	.bss,"aw",@nobits
	.globl	__hip_cuid_395bbb737557039b
__hip_cuid_395bbb737557039b:
	.byte	0                               ; 0x0
	.size	__hip_cuid_395bbb737557039b, 1

	.ident	"AMD clang version 19.0.0git (https://github.com/RadeonOpenCompute/llvm-project roc-6.4.0 25133 c7fe45cf4b819c5991fe208aaa96edf142730f1d)"
	.section	".note.GNU-stack","",@progbits
	.addrsig
	.addrsig_sym __hip_cuid_395bbb737557039b
	.amdgpu_metadata
---
amdhsa.kernels:
  - .args:
      - .actual_access:  read_only
        .address_space:  global
        .offset:         0
        .size:           8
        .value_kind:     global_buffer
      - .offset:         8
        .size:           8
        .value_kind:     by_value
      - .actual_access:  read_only
        .address_space:  global
        .offset:         16
        .size:           8
        .value_kind:     global_buffer
      - .actual_access:  read_only
        .address_space:  global
        .offset:         24
        .size:           8
        .value_kind:     global_buffer
      - .offset:         32
        .size:           8
        .value_kind:     by_value
      - .actual_access:  read_only
        .address_space:  global
        .offset:         40
        .size:           8
        .value_kind:     global_buffer
      - .actual_access:  read_only
        .address_space:  global
        .offset:         48
        .size:           8
        .value_kind:     global_buffer
      - .offset:         56
        .size:           4
        .value_kind:     by_value
      - .actual_access:  read_only
        .address_space:  global
        .offset:         64
        .size:           8
        .value_kind:     global_buffer
      - .actual_access:  read_only
        .address_space:  global
        .offset:         72
        .size:           8
        .value_kind:     global_buffer
      - .address_space:  global
        .offset:         80
        .size:           8
        .value_kind:     global_buffer
    .group_segment_fixed_size: 0
    .kernarg_segment_align: 8
    .kernarg_segment_size: 88
    .language:       OpenCL C
    .language_version:
      - 2
      - 0
    .max_flat_workgroup_size: 126
    .name:           fft_rtc_fwd_len1890_factors_2_3_3_3_7_5_wgs_126_tpt_126_halfLds_dp_ip_CI_unitstride_sbrr_dirReg
    .private_segment_fixed_size: 0
    .sgpr_count:     28
    .sgpr_spill_count: 0
    .symbol:         fft_rtc_fwd_len1890_factors_2_3_3_3_7_5_wgs_126_tpt_126_halfLds_dp_ip_CI_unitstride_sbrr_dirReg.kd
    .uniform_work_group_size: 1
    .uses_dynamic_stack: false
    .vgpr_count:     159
    .vgpr_spill_count: 0
    .wavefront_size: 32
    .workgroup_processor_mode: 1
amdhsa.target:   amdgcn-amd-amdhsa--gfx1030
amdhsa.version:
  - 1
  - 2
...

	.end_amdgpu_metadata
